;; amdgpu-corpus repo=zjin-lcf/HeCBench kind=compiled arch=gfx90a opt=O3
	.text
	.amdgcn_target "amdgcn-amd-amdhsa--gfx90a"
	.amdhsa_code_object_version 6
	.protected	_Z17initialize_bufferPffi ; -- Begin function _Z17initialize_bufferPffi
	.globl	_Z17initialize_bufferPffi
	.p2align	8
	.type	_Z17initialize_bufferPffi,@function
_Z17initialize_bufferPffi:              ; @_Z17initialize_bufferPffi
; %bb.0:
	s_load_dword s2, s[4:5], 0x1c
	s_load_dwordx2 s[0:1], s[4:5], 0x8
	s_waitcnt lgkmcnt(0)
	s_and_b32 s2, s2, 0xffff
	s_mul_i32 s6, s6, s2
	v_add_u32_e32 v0, s6, v0
	v_cmp_gt_i32_e32 vcc, s1, v0
	s_and_saveexec_b64 s[2:3], vcc
	s_cbranch_execz .LBB0_2
; %bb.1:
	s_load_dwordx2 s[2:3], s[4:5], 0x0
	v_ashrrev_i32_e32 v1, 31, v0
	v_lshlrev_b64 v[0:1], 2, v[0:1]
	s_waitcnt lgkmcnt(0)
	v_mov_b32_e32 v2, s3
	v_add_co_u32_e32 v0, vcc, s2, v0
	v_addc_co_u32_e32 v1, vcc, v2, v1, vcc
	v_mov_b32_e32 v2, s0
	global_store_dword v[0:1], v2, off
.LBB0_2:
	s_endpgm
	.section	.rodata,"a",@progbits
	.p2align	6, 0x0
	.amdhsa_kernel _Z17initialize_bufferPffi
		.amdhsa_group_segment_fixed_size 0
		.amdhsa_private_segment_fixed_size 0
		.amdhsa_kernarg_size 272
		.amdhsa_user_sgpr_count 6
		.amdhsa_user_sgpr_private_segment_buffer 1
		.amdhsa_user_sgpr_dispatch_ptr 0
		.amdhsa_user_sgpr_queue_ptr 0
		.amdhsa_user_sgpr_kernarg_segment_ptr 1
		.amdhsa_user_sgpr_dispatch_id 0
		.amdhsa_user_sgpr_flat_scratch_init 0
		.amdhsa_user_sgpr_kernarg_preload_length 0
		.amdhsa_user_sgpr_kernarg_preload_offset 0
		.amdhsa_user_sgpr_private_segment_size 0
		.amdhsa_uses_dynamic_stack 0
		.amdhsa_system_sgpr_private_segment_wavefront_offset 0
		.amdhsa_system_sgpr_workgroup_id_x 1
		.amdhsa_system_sgpr_workgroup_id_y 0
		.amdhsa_system_sgpr_workgroup_id_z 0
		.amdhsa_system_sgpr_workgroup_info 0
		.amdhsa_system_vgpr_workitem_id 0
		.amdhsa_next_free_vgpr 3
		.amdhsa_next_free_sgpr 7
		.amdhsa_accum_offset 4
		.amdhsa_reserve_vcc 1
		.amdhsa_reserve_flat_scratch 0
		.amdhsa_float_round_mode_32 0
		.amdhsa_float_round_mode_16_64 0
		.amdhsa_float_denorm_mode_32 3
		.amdhsa_float_denorm_mode_16_64 3
		.amdhsa_dx10_clamp 1
		.amdhsa_ieee_mode 1
		.amdhsa_fp16_overflow 0
		.amdhsa_tg_split 0
		.amdhsa_exception_fp_ieee_invalid_op 0
		.amdhsa_exception_fp_denorm_src 0
		.amdhsa_exception_fp_ieee_div_zero 0
		.amdhsa_exception_fp_ieee_overflow 0
		.amdhsa_exception_fp_ieee_underflow 0
		.amdhsa_exception_fp_ieee_inexact 0
		.amdhsa_exception_int_div_zero 0
	.end_amdhsa_kernel
	.text
.Lfunc_end0:
	.size	_Z17initialize_bufferPffi, .Lfunc_end0-_Z17initialize_bufferPffi
                                        ; -- End function
	.section	.AMDGPU.csdata,"",@progbits
; Kernel info:
; codeLenInByte = 100
; NumSgprs: 11
; NumVgprs: 3
; NumAgprs: 0
; TotalNumVgprs: 3
; ScratchSize: 0
; MemoryBound: 0
; FloatMode: 240
; IeeeMode: 1
; LDSByteSize: 0 bytes/workgroup (compile time only)
; SGPRBlocks: 1
; VGPRBlocks: 0
; NumSGPRsForWavesPerEU: 11
; NumVGPRsForWavesPerEU: 3
; AccumOffset: 4
; Occupancy: 8
; WaveLimiterHint : 0
; COMPUTE_PGM_RSRC2:SCRATCH_EN: 0
; COMPUTE_PGM_RSRC2:USER_SGPR: 6
; COMPUTE_PGM_RSRC2:TRAP_HANDLER: 0
; COMPUTE_PGM_RSRC2:TGID_X_EN: 1
; COMPUTE_PGM_RSRC2:TGID_Y_EN: 0
; COMPUTE_PGM_RSRC2:TGID_Z_EN: 0
; COMPUTE_PGM_RSRC2:TIDIG_COMP_CNT: 0
; COMPUTE_PGM_RSRC3_GFX90A:ACCUM_OFFSET: 0
; COMPUTE_PGM_RSRC3_GFX90A:TG_SPLIT: 0
	.text
	.protected	_Z20initialize_variablesiPfPKf ; -- Begin function _Z20initialize_variablesiPfPKf
	.globl	_Z20initialize_variablesiPfPKf
	.p2align	8
	.type	_Z20initialize_variablesiPfPKf,@function
_Z20initialize_variablesiPfPKf:         ; @_Z20initialize_variablesiPfPKf
; %bb.0:
	s_load_dword s7, s[4:5], 0x24
	s_load_dwordx4 s[0:3], s[4:5], 0x8
	v_mov_b32_e32 v4, 0
	s_load_dword s4, s[4:5], 0x0
	s_waitcnt lgkmcnt(0)
	s_and_b32 s7, s7, 0xffff
	s_mul_i32 s6, s6, s7
	v_add_u32_e32 v0, s6, v0
	s_load_dword s6, s[2:3], 0x0
	v_ashrrev_i32_e32 v1, 31, v0
	v_lshlrev_b64 v[2:3], 2, v[0:1]
	v_mov_b32_e32 v1, s1
	v_add_co_u32_e32 v2, vcc, s0, v2
	v_addc_co_u32_e32 v3, vcc, v1, v3, vcc
	s_waitcnt lgkmcnt(0)
	v_mov_b32_e32 v1, s6
	global_store_dword v[2:3], v1, off
	global_load_dword v1, v4, s[2:3] offset:4
	s_ashr_i32 s5, s4, 31
	s_lshl_b64 s[6:7], s[4:5], 2
	v_mov_b32_e32 v5, s7
	v_add_co_u32_e32 v2, vcc, s6, v2
	v_addc_co_u32_e32 v3, vcc, v3, v5, vcc
	s_add_i32 s5, s4, s4
	v_add_u32_e32 v0, s5, v0
	s_waitcnt vmcnt(0)
	global_store_dword v[2:3], v1, off
	global_load_dword v5, v4, s[2:3] offset:8
	v_ashrrev_i32_e32 v1, 31, v0
	v_lshlrev_b64 v[2:3], 2, v[0:1]
	v_mov_b32_e32 v1, s1
	v_add_co_u32_e32 v2, vcc, s0, v2
	v_addc_co_u32_e32 v3, vcc, v1, v3, vcc
	v_add_u32_e32 v0, s4, v0
	v_ashrrev_i32_e32 v1, 31, v0
	s_waitcnt vmcnt(0)
	global_store_dword v[2:3], v5, off
	global_load_dword v5, v4, s[2:3] offset:12
	v_lshlrev_b64 v[2:3], 2, v[0:1]
	v_mov_b32_e32 v1, s1
	v_add_co_u32_e32 v2, vcc, s0, v2
	v_addc_co_u32_e32 v3, vcc, v1, v3, vcc
	v_add_u32_e32 v0, s4, v0
	v_ashrrev_i32_e32 v1, 31, v0
	v_lshlrev_b64 v[0:1], 2, v[0:1]
	v_add_co_u32_e32 v0, vcc, s0, v0
	s_waitcnt vmcnt(0)
	global_store_dword v[2:3], v5, off
	global_load_dword v2, v4, s[2:3] offset:16
	v_mov_b32_e32 v3, s1
	v_addc_co_u32_e32 v1, vcc, v3, v1, vcc
	s_waitcnt vmcnt(0)
	global_store_dword v[0:1], v2, off
	s_endpgm
	.section	.rodata,"a",@progbits
	.p2align	6, 0x0
	.amdhsa_kernel _Z20initialize_variablesiPfPKf
		.amdhsa_group_segment_fixed_size 0
		.amdhsa_private_segment_fixed_size 0
		.amdhsa_kernarg_size 280
		.amdhsa_user_sgpr_count 6
		.amdhsa_user_sgpr_private_segment_buffer 1
		.amdhsa_user_sgpr_dispatch_ptr 0
		.amdhsa_user_sgpr_queue_ptr 0
		.amdhsa_user_sgpr_kernarg_segment_ptr 1
		.amdhsa_user_sgpr_dispatch_id 0
		.amdhsa_user_sgpr_flat_scratch_init 0
		.amdhsa_user_sgpr_kernarg_preload_length 0
		.amdhsa_user_sgpr_kernarg_preload_offset 0
		.amdhsa_user_sgpr_private_segment_size 0
		.amdhsa_uses_dynamic_stack 0
		.amdhsa_system_sgpr_private_segment_wavefront_offset 0
		.amdhsa_system_sgpr_workgroup_id_x 1
		.amdhsa_system_sgpr_workgroup_id_y 0
		.amdhsa_system_sgpr_workgroup_id_z 0
		.amdhsa_system_sgpr_workgroup_info 0
		.amdhsa_system_vgpr_workitem_id 0
		.amdhsa_next_free_vgpr 6
		.amdhsa_next_free_sgpr 8
		.amdhsa_accum_offset 8
		.amdhsa_reserve_vcc 1
		.amdhsa_reserve_flat_scratch 0
		.amdhsa_float_round_mode_32 0
		.amdhsa_float_round_mode_16_64 0
		.amdhsa_float_denorm_mode_32 3
		.amdhsa_float_denorm_mode_16_64 3
		.amdhsa_dx10_clamp 1
		.amdhsa_ieee_mode 1
		.amdhsa_fp16_overflow 0
		.amdhsa_tg_split 0
		.amdhsa_exception_fp_ieee_invalid_op 0
		.amdhsa_exception_fp_denorm_src 0
		.amdhsa_exception_fp_ieee_div_zero 0
		.amdhsa_exception_fp_ieee_overflow 0
		.amdhsa_exception_fp_ieee_underflow 0
		.amdhsa_exception_fp_ieee_inexact 0
		.amdhsa_exception_int_div_zero 0
	.end_amdhsa_kernel
	.text
.Lfunc_end1:
	.size	_Z20initialize_variablesiPfPKf, .Lfunc_end1-_Z20initialize_variablesiPfPKf
                                        ; -- End function
	.section	.AMDGPU.csdata,"",@progbits
; Kernel info:
; codeLenInByte = 288
; NumSgprs: 12
; NumVgprs: 6
; NumAgprs: 0
; TotalNumVgprs: 6
; ScratchSize: 0
; MemoryBound: 0
; FloatMode: 240
; IeeeMode: 1
; LDSByteSize: 0 bytes/workgroup (compile time only)
; SGPRBlocks: 1
; VGPRBlocks: 0
; NumSGPRsForWavesPerEU: 12
; NumVGPRsForWavesPerEU: 6
; AccumOffset: 8
; Occupancy: 8
; WaveLimiterHint : 0
; COMPUTE_PGM_RSRC2:SCRATCH_EN: 0
; COMPUTE_PGM_RSRC2:USER_SGPR: 6
; COMPUTE_PGM_RSRC2:TRAP_HANDLER: 0
; COMPUTE_PGM_RSRC2:TGID_X_EN: 1
; COMPUTE_PGM_RSRC2:TGID_Y_EN: 0
; COMPUTE_PGM_RSRC2:TGID_Z_EN: 0
; COMPUTE_PGM_RSRC2:TIDIG_COMP_CNT: 0
; COMPUTE_PGM_RSRC3_GFX90A:ACCUM_OFFSET: 1
; COMPUTE_PGM_RSRC3_GFX90A:TG_SPLIT: 0
	.text
	.protected	_Z19compute_step_factoriPfS_S_ ; -- Begin function _Z19compute_step_factoriPfS_S_
	.globl	_Z19compute_step_factoriPfS_S_
	.p2align	8
	.type	_Z19compute_step_factoriPfS_S_,@function
_Z19compute_step_factoriPfS_S_:         ; @_Z19compute_step_factoriPfS_S_
; %bb.0:
	s_load_dword s0, s[4:5], 0x2c
	s_load_dword s8, s[4:5], 0x0
	s_waitcnt lgkmcnt(0)
	s_and_b32 s0, s0, 0xffff
	s_mul_i32 s6, s6, s0
	v_add_u32_e32 v2, s6, v0
	v_cmp_gt_i32_e32 vcc, s8, v2
	s_and_saveexec_b64 s[0:1], vcc
	s_cbranch_execz .LBB2_2
; %bb.1:
	s_load_dwordx4 s[0:3], s[4:5], 0x8
	s_load_dwordx2 s[6:7], s[4:5], 0x18
	v_ashrrev_i32_e32 v3, 31, v2
	v_lshlrev_b64 v[0:1], 2, v[2:3]
	s_ashr_i32 s9, s8, 31
	s_waitcnt lgkmcnt(0)
	v_mov_b32_e32 v3, s1
	v_add_co_u32_e32 v4, vcc, s0, v0
	v_addc_co_u32_e32 v5, vcc, v3, v1, vcc
	s_lshl_b64 s[4:5], s[8:9], 2
	v_add_co_u32_e32 v6, vcc, s4, v4
	s_add_i32 s4, s8, s8
	v_mov_b32_e32 v3, s5
	v_add_u32_e32 v2, s4, v2
	v_addc_co_u32_e32 v7, vcc, v5, v3, vcc
	v_ashrrev_i32_e32 v3, 31, v2
	v_lshlrev_b64 v[8:9], 2, v[2:3]
	v_mov_b32_e32 v3, s1
	v_add_co_u32_e32 v8, vcc, s0, v8
	v_add_u32_e32 v2, s8, v2
	v_addc_co_u32_e32 v9, vcc, v3, v9, vcc
	v_ashrrev_i32_e32 v3, 31, v2
	global_load_dword v10, v[4:5], off
	global_load_dword v11, v[6:7], off
	;; [unrolled: 1-line block ×3, first 2 shown]
	v_lshlrev_b64 v[4:5], 2, v[2:3]
	v_mov_b32_e32 v3, s1
	v_add_co_u32_e32 v4, vcc, s0, v4
	v_addc_co_u32_e32 v5, vcc, v3, v5, vcc
	global_load_dword v4, v[4:5], off
	v_add_u32_e32 v2, s8, v2
	v_ashrrev_i32_e32 v3, 31, v2
	v_lshlrev_b64 v[2:3], 2, v[2:3]
	v_mov_b32_e32 v5, s1
	v_add_co_u32_e32 v2, vcc, s0, v2
	v_addc_co_u32_e32 v3, vcc, v5, v3, vcc
	global_load_dword v5, v[2:3], off
	v_mov_b32_e32 v3, s3
	v_add_co_u32_e32 v2, vcc, s2, v0
	v_addc_co_u32_e32 v3, vcc, v3, v1, vcc
	global_load_dword v2, v[2:3], off
	s_mov_b32 s4, 0xf800000
	s_waitcnt vmcnt(5)
	v_mul_f32_e32 v3, 0.5, v10
	s_waitcnt vmcnt(4)
	v_div_scale_f32 v6, s[0:1], v10, v10, v11
	s_waitcnt vmcnt(3)
	v_div_scale_f32 v8, s[0:1], v10, v10, v12
	v_rcp_f32_e32 v14, v6
	v_rcp_f32_e32 v15, v8
	v_div_scale_f32 v7, vcc, v11, v10, v11
	s_waitcnt vmcnt(2)
	v_div_scale_f32 v13, s[2:3], v10, v10, v4
	v_rcp_f32_e32 v16, v13
	v_fma_f32 v18, -v6, v14, 1.0
	v_fma_f32 v19, -v8, v15, 1.0
	v_fmac_f32_e32 v14, v18, v14
	v_div_scale_f32 v9, s[0:1], v12, v10, v12
	v_fmac_f32_e32 v15, v19, v15
	v_mul_f32_e32 v18, v7, v14
	v_fma_f32 v20, -v13, v16, 1.0
	v_mul_f32_e32 v19, v9, v15
	v_fma_f32 v21, -v6, v18, v7
	v_div_scale_f32 v17, s[2:3], v4, v10, v4
	v_fmac_f32_e32 v16, v20, v16
	v_fma_f32 v22, -v8, v19, v9
	v_fmac_f32_e32 v18, v21, v14
	v_mul_f32_e32 v20, v17, v16
	v_fmac_f32_e32 v19, v22, v15
	v_fma_f32 v6, -v6, v18, v7
	v_fma_f32 v23, -v13, v20, v17
	;; [unrolled: 1-line block ×3, first 2 shown]
	v_div_fmas_f32 v6, v6, v14, v18
	s_mov_b64 vcc, s[0:1]
	v_fmac_f32_e32 v20, v23, v16
	v_div_fmas_f32 v7, v7, v15, v19
	v_fma_f32 v8, -v13, v20, v17
	v_div_fixup_f32 v7, v7, v10, v12
	s_mov_b64 vcc, s[2:3]
	v_div_fixup_f32 v6, v6, v10, v11
	v_div_fmas_f32 v8, v8, v16, v20
	v_mul_f32_e32 v7, v7, v7
	v_div_fixup_f32 v4, v8, v10, v4
	v_fmac_f32_e32 v7, v6, v6
	v_fmac_f32_e32 v7, v4, v4
	s_waitcnt vmcnt(1)
	v_fma_f32 v3, -v3, v7, v5
	v_mul_f32_e32 v3, 0x3ecccccc, v3
	v_mul_f32_e32 v3, 0x3fb33333, v3
	v_div_scale_f32 v4, s[0:1], v10, v10, v3
	v_rcp_f32_e32 v5, v4
	v_div_scale_f32 v6, vcc, v3, v10, v3
	s_waitcnt vmcnt(0)
	v_cmp_gt_f32_e64 s[0:1], s4, v2
	v_fma_f32 v8, -v4, v5, 1.0
	v_fmac_f32_e32 v5, v8, v5
	v_mul_f32_e32 v8, v6, v5
	v_fma_f32 v9, -v4, v8, v6
	v_fmac_f32_e32 v8, v9, v5
	v_fma_f32 v4, -v4, v8, v6
	v_div_fmas_f32 v4, v4, v5, v8
	v_div_fixup_f32 v3, v4, v10, v3
	v_mul_f32_e32 v4, 0x4f800000, v3
	v_cmp_gt_f32_e32 vcc, s4, v3
	v_cndmask_b32_e32 v3, v3, v4, vcc
	v_sqrt_f32_e32 v4, v3
	v_mul_f32_e32 v5, 0x4f800000, v2
	v_cndmask_b32_e64 v2, v2, v5, s[0:1]
	v_add_u32_e32 v5, -1, v4
	v_add_u32_e32 v6, 1, v4
	v_fma_f32 v8, -v5, v4, v3
	v_fma_f32 v9, -v6, v4, v3
	v_cmp_ge_f32_e64 s[2:3], 0, v8
	v_cndmask_b32_e64 v4, v4, v5, s[2:3]
	v_cmp_lt_f32_e64 s[2:3], 0, v9
	v_cndmask_b32_e64 v4, v4, v6, s[2:3]
	v_mul_f32_e32 v5, 0x37800000, v4
	v_cndmask_b32_e32 v4, v4, v5, vcc
	v_sqrt_f32_e32 v5, v2
	v_mov_b32_e32 v6, 0x260
	v_cmp_class_f32_e32 vcc, v3, v6
	v_cndmask_b32_e32 v3, v4, v3, vcc
	v_add_u32_e32 v4, -1, v5
	v_fma_f32 v8, -v4, v5, v2
	v_cmp_ge_f32_e32 vcc, 0, v8
	v_add_u32_e32 v8, 1, v5
	v_cndmask_b32_e32 v4, v5, v4, vcc
	v_fma_f32 v5, -v8, v5, v2
	v_cmp_lt_f32_e32 vcc, 0, v5
	v_cndmask_b32_e32 v4, v4, v8, vcc
	v_mul_f32_e32 v8, 0x4f800000, v7
	v_cmp_gt_f32_e32 vcc, s4, v7
	v_cndmask_b32_e32 v7, v7, v8, vcc
	v_sqrt_f32_e32 v8, v7
	v_mul_f32_e32 v5, 0x37800000, v4
	v_cndmask_b32_e64 v4, v4, v5, s[0:1]
	v_cmp_class_f32_e64 s[0:1], v2, v6
	v_cndmask_b32_e64 v2, v4, v2, s[0:1]
	v_add_u32_e32 v4, -1, v8
	v_fma_f32 v5, -v4, v8, v7
	v_cmp_ge_f32_e64 s[0:1], 0, v5
	v_add_u32_e32 v5, 1, v8
	v_cndmask_b32_e64 v4, v8, v4, s[0:1]
	v_fma_f32 v8, -v5, v8, v7
	v_cmp_lt_f32_e64 s[0:1], 0, v8
	v_cndmask_b32_e64 v4, v4, v5, s[0:1]
	v_mul_f32_e32 v5, 0x37800000, v4
	v_cndmask_b32_e32 v4, v4, v5, vcc
	v_cmp_class_f32_e32 vcc, v7, v6
	v_cndmask_b32_e32 v4, v4, v7, vcc
	v_add_f32_e32 v3, v4, v3
	v_mul_f32_e32 v2, v2, v3
	v_div_scale_f32 v3, s[0:1], v2, v2, 0.5
	v_rcp_f32_e32 v4, v3
	v_fma_f32 v5, -v3, v4, 1.0
	v_fmac_f32_e32 v4, v5, v4
	v_div_scale_f32 v5, vcc, 0.5, v2, 0.5
	v_mul_f32_e32 v6, v5, v4
	v_fma_f32 v7, -v3, v6, v5
	v_fmac_f32_e32 v6, v7, v4
	v_fma_f32 v3, -v3, v6, v5
	v_div_fmas_f32 v3, v3, v4, v6
	v_div_fixup_f32 v2, v3, v2, 0.5
	v_mov_b32_e32 v3, s7
	v_add_co_u32_e32 v0, vcc, s6, v0
	v_addc_co_u32_e32 v1, vcc, v3, v1, vcc
	global_store_dword v[0:1], v2, off
.LBB2_2:
	s_endpgm
	.section	.rodata,"a",@progbits
	.p2align	6, 0x0
	.amdhsa_kernel _Z19compute_step_factoriPfS_S_
		.amdhsa_group_segment_fixed_size 0
		.amdhsa_private_segment_fixed_size 0
		.amdhsa_kernarg_size 288
		.amdhsa_user_sgpr_count 6
		.amdhsa_user_sgpr_private_segment_buffer 1
		.amdhsa_user_sgpr_dispatch_ptr 0
		.amdhsa_user_sgpr_queue_ptr 0
		.amdhsa_user_sgpr_kernarg_segment_ptr 1
		.amdhsa_user_sgpr_dispatch_id 0
		.amdhsa_user_sgpr_flat_scratch_init 0
		.amdhsa_user_sgpr_kernarg_preload_length 0
		.amdhsa_user_sgpr_kernarg_preload_offset 0
		.amdhsa_user_sgpr_private_segment_size 0
		.amdhsa_uses_dynamic_stack 0
		.amdhsa_system_sgpr_private_segment_wavefront_offset 0
		.amdhsa_system_sgpr_workgroup_id_x 1
		.amdhsa_system_sgpr_workgroup_id_y 0
		.amdhsa_system_sgpr_workgroup_id_z 0
		.amdhsa_system_sgpr_workgroup_info 0
		.amdhsa_system_vgpr_workitem_id 0
		.amdhsa_next_free_vgpr 24
		.amdhsa_next_free_sgpr 10
		.amdhsa_accum_offset 24
		.amdhsa_reserve_vcc 1
		.amdhsa_reserve_flat_scratch 0
		.amdhsa_float_round_mode_32 0
		.amdhsa_float_round_mode_16_64 0
		.amdhsa_float_denorm_mode_32 3
		.amdhsa_float_denorm_mode_16_64 3
		.amdhsa_dx10_clamp 1
		.amdhsa_ieee_mode 1
		.amdhsa_fp16_overflow 0
		.amdhsa_tg_split 0
		.amdhsa_exception_fp_ieee_invalid_op 0
		.amdhsa_exception_fp_denorm_src 0
		.amdhsa_exception_fp_ieee_div_zero 0
		.amdhsa_exception_fp_ieee_overflow 0
		.amdhsa_exception_fp_ieee_underflow 0
		.amdhsa_exception_fp_ieee_inexact 0
		.amdhsa_exception_int_div_zero 0
	.end_amdhsa_kernel
	.text
.Lfunc_end2:
	.size	_Z19compute_step_factoriPfS_S_, .Lfunc_end2-_Z19compute_step_factoriPfS_S_
                                        ; -- End function
	.section	.AMDGPU.csdata,"",@progbits
; Kernel info:
; codeLenInByte = 1032
; NumSgprs: 14
; NumVgprs: 24
; NumAgprs: 0
; TotalNumVgprs: 24
; ScratchSize: 0
; MemoryBound: 0
; FloatMode: 240
; IeeeMode: 1
; LDSByteSize: 0 bytes/workgroup (compile time only)
; SGPRBlocks: 1
; VGPRBlocks: 2
; NumSGPRsForWavesPerEU: 14
; NumVGPRsForWavesPerEU: 24
; AccumOffset: 24
; Occupancy: 8
; WaveLimiterHint : 0
; COMPUTE_PGM_RSRC2:SCRATCH_EN: 0
; COMPUTE_PGM_RSRC2:USER_SGPR: 6
; COMPUTE_PGM_RSRC2:TRAP_HANDLER: 0
; COMPUTE_PGM_RSRC2:TGID_X_EN: 1
; COMPUTE_PGM_RSRC2:TGID_Y_EN: 0
; COMPUTE_PGM_RSRC2:TGID_Z_EN: 0
; COMPUTE_PGM_RSRC2:TIDIG_COMP_CNT: 0
; COMPUTE_PGM_RSRC3_GFX90A:ACCUM_OFFSET: 5
; COMPUTE_PGM_RSRC3_GFX90A:TG_SPLIT: 0
	.text
	.protected	_Z12compute_fluxiPiPfS0_S0_S0_P6Float3S2_S2_S2_ ; -- Begin function _Z12compute_fluxiPiPfS0_S0_S0_P6Float3S2_S2_S2_
	.globl	_Z12compute_fluxiPiPfS0_S0_S0_P6Float3S2_S2_S2_
	.p2align	8
	.type	_Z12compute_fluxiPiPfS0_S0_S0_P6Float3S2_S2_S2_,@function
_Z12compute_fluxiPiPfS0_S0_S0_P6Float3S2_S2_S2_: ; @_Z12compute_fluxiPiPfS0_S0_S0_P6Float3S2_S2_S2_
; %bb.0:
	s_load_dword s0, s[4:5], 0x5c
	s_load_dword s24, s[4:5], 0x0
	s_waitcnt lgkmcnt(0)
	s_and_b32 s0, s0, 0xffff
	s_mul_i32 s6, s6, s0
	v_add_u32_e32 v2, s6, v0
	v_cmp_gt_i32_e32 vcc, s24, v2
	s_and_saveexec_b64 s[0:1], vcc
	s_cbranch_execz .LBB3_42
; %bb.1:
	s_load_dwordx16 s[8:23], s[4:5], 0x8
	v_ashrrev_i32_e32 v3, 31, v2
	v_lshlrev_b64 v[0:1], 2, v[2:3]
	s_ashr_i32 s25, s24, 31
	s_add_i32 s0, s24, s24
	s_waitcnt lgkmcnt(0)
	v_mov_b32_e32 v3, s13
	v_add_co_u32_e32 v4, vcc, s12, v0
	v_addc_co_u32_e32 v5, vcc, v3, v1, vcc
	s_lshl_b64 s[6:7], s[24:25], 2
	v_add_u32_e32 v10, s0, v2
	v_mov_b32_e32 v3, s7
	v_add_co_u32_e32 v8, vcc, s6, v4
	v_ashrrev_i32_e32 v11, 31, v10
	v_addc_co_u32_e32 v9, vcc, v5, v3, vcc
	v_lshlrev_b64 v[2:3], 2, v[10:11]
	v_mov_b32_e32 v6, s13
	v_add_co_u32_e32 v14, vcc, s12, v2
	v_addc_co_u32_e32 v15, vcc, v6, v3, vcc
	global_load_dword v13, v[4:5], off
	global_load_dword v6, v[8:9], off
	;; [unrolled: 1-line block ×3, first 2 shown]
	v_add_u32_e32 v8, s24, v10
	v_ashrrev_i32_e32 v9, 31, v8
	v_lshlrev_b64 v[4:5], 2, v[8:9]
	v_mov_b32_e32 v9, s13
	v_add_co_u32_e32 v10, vcc, s12, v4
	v_addc_co_u32_e32 v11, vcc, v9, v5, vcc
	global_load_dword v10, v[10:11], off
	v_add_u32_e32 v8, s24, v8
	s_lshl_b32 s25, s24, 2
	v_ashrrev_i32_e32 v9, 31, v8
	v_add_u32_e32 v34, s25, v8
	v_lshlrev_b64 v[8:9], 2, v[8:9]
	v_mov_b32_e32 v11, s13
	v_add_co_u32_e32 v14, vcc, s12, v8
	v_addc_co_u32_e32 v15, vcc, v11, v9, vcc
	global_load_dword v12, v[14:15], off
	v_mov_b32_e32 v16, s9
	v_add_co_u32_e32 v38, vcc, s8, v0
	v_addc_co_u32_e32 v39, vcc, v16, v1, vcc
	v_mov_b32_e32 v17, s11
	v_add_co_u32_e32 v36, vcc, s10, v0
	v_addc_co_u32_e32 v37, vcc, v17, v1, vcc
	v_mov_b32_e32 v18, s11
	v_ashrrev_i32_e32 v35, 31, v34
	v_add_co_u32_e32 v16, vcc, s10, v8
	v_addc_co_u32_e32 v17, vcc, v18, v9, vcc
	v_lshlrev_b64 v[18:19], 2, v[34:35]
	v_mov_b32_e32 v20, s11
	v_add_co_u32_e32 v18, vcc, s10, v18
	global_load_dword v42, v[38:39], off
	global_load_dword v15, v[36:37], off
	v_addc_co_u32_e32 v19, vcc, v20, v19, vcc
	global_load_dword v41, v[16:17], off
	global_load_dword v40, v[18:19], off
	s_mov_b32 s28, 0xf800000
	s_load_dwordx2 s[26:27], s[4:5], 0x48
                                        ; implicit-def: $vgpr32_vgpr33
	s_waitcnt vmcnt(8)
	v_mul_f32_e32 v19, -0.5, v13
	s_waitcnt vmcnt(7)
	v_div_scale_f32 v11, s[0:1], v13, v13, v6
	s_waitcnt vmcnt(6)
	v_div_scale_f32 v20, s[0:1], v13, v13, v7
	v_rcp_f32_e32 v22, v11
	v_rcp_f32_e32 v23, v20
	v_div_scale_f32 v14, vcc, v6, v13, v6
	v_fma_f32 v26, -v11, v22, 1.0
	v_fma_f32 v27, -v20, v23, 1.0
	v_fmac_f32_e32 v22, v26, v22
	v_div_scale_f32 v21, s[0:1], v7, v13, v7
	v_fmac_f32_e32 v23, v27, v23
	v_mul_f32_e32 v26, v14, v22
	s_waitcnt vmcnt(5)
	v_div_scale_f32 v24, s[2:3], v13, v13, v10
	v_mul_f32_e32 v27, v21, v23
	v_fma_f32 v28, -v11, v26, v14
	v_rcp_f32_e32 v25, v24
	v_fma_f32 v29, -v20, v27, v21
	v_fmac_f32_e32 v26, v28, v22
	v_fmac_f32_e32 v27, v29, v23
	v_fma_f32 v11, -v11, v26, v14
	v_fma_f32 v14, -v20, v27, v21
	v_div_fmas_f32 v11, v11, v22, v26
	s_mov_b64 vcc, s[0:1]
	v_div_fixup_f32 v26, v11, v13, v6
	v_div_fmas_f32 v11, v14, v23, v27
	v_div_fixup_f32 v27, v11, v13, v7
	v_fma_f32 v11, -v24, v25, 1.0
	v_fmac_f32_e32 v25, v11, v25
	v_div_scale_f32 v11, vcc, v10, v13, v10
	v_mul_f32_e32 v14, v11, v25
	v_fma_f32 v16, -v24, v14, v11
	v_fmac_f32_e32 v14, v16, v25
	v_fma_f32 v11, -v24, v14, v11
	v_div_fmas_f32 v11, v11, v25, v14
	v_pk_mul_f32 v[16:17], v[26:27], v[26:27]
	v_div_fixup_f32 v11, v11, v13, v10
	v_add_f32_e32 v14, v16, v17
	v_fmac_f32_e32 v14, v11, v11
	v_mul_f32_e32 v16, 0x4f800000, v14
	v_cmp_gt_f32_e64 s[0:1], s28, v14
	v_cndmask_b32_e64 v23, v14, v16, s[0:1]
	v_sqrt_f32_e32 v16, v23
	s_waitcnt vmcnt(4)
	v_fma_f32 v21, v19, v14, v12
	v_mul_f32_e32 v30, 0x3ecccccc, v21
	v_mul_f32_e32 v14, 0x3fb33333, v30
	v_add_u32_e32 v17, -1, v16
	v_div_scale_f32 v19, s[2:3], v13, v13, v14
	v_fma_f32 v18, -v17, v16, v23
	v_rcp_f32_e32 v20, v19
	v_cmp_ge_f32_e32 vcc, 0, v18
	v_add_u32_e32 v18, 1, v16
	v_cndmask_b32_e32 v17, v16, v17, vcc
	v_fma_f32 v16, -v18, v16, v23
	v_cmp_lt_f32_e32 vcc, 0, v16
	v_cndmask_b32_e32 v16, v17, v18, vcc
	v_fma_f32 v18, -v19, v20, 1.0
	v_fmac_f32_e32 v20, v18, v20
	v_div_scale_f32 v18, vcc, v14, v13, v14
	v_mul_f32_e32 v22, v18, v20
	v_fma_f32 v24, -v19, v22, v18
	v_fmac_f32_e32 v22, v24, v20
	v_fma_f32 v18, -v19, v22, v18
	v_div_fmas_f32 v18, v18, v20, v22
	v_div_fixup_f32 v14, v18, v13, v14
	v_mul_f32_e32 v18, 0x4f800000, v14
	v_cmp_gt_f32_e64 s[2:3], s28, v14
	v_cndmask_b32_e64 v25, v14, v18, s[2:3]
	v_sqrt_f32_e32 v14, v25
	v_mul_f32_e32 v17, 0x37800000, v16
	v_cndmask_b32_e64 v31, v16, v17, s[0:1]
	v_mov_b32_e32 v22, v12
	v_add_u32_e32 v17, -1, v14
	v_fma_f32 v18, -v17, v14, v25
	v_cmp_ge_f32_e64 s[0:1], 0, v18
	v_add_u32_e32 v18, 1, v14
	v_cndmask_b32_e64 v17, v14, v17, s[0:1]
	v_fma_f32 v14, -v18, v14, v25
	v_cmp_lt_f32_e64 s[0:1], 0, v14
	v_cndmask_b32_e64 v14, v17, v18, s[0:1]
	v_mov_b32_e32 v16, 0x260
	v_mul_f32_e32 v17, 0x37800000, v14
	v_fmac_f32_e32 v22, 0x3ecccccc, v21
	v_cmp_class_f32_e32 vcc, v23, v16
	v_cndmask_b32_e64 v35, v14, v17, s[2:3]
	v_cmp_class_f32_e64 s[0:1], v25, v16
	v_fma_f32 v20, v6, v26, v30
	v_mul_f32_e32 v18, v7, v26
	v_fma_f32 v19, v7, v27, v30
	v_pk_mul_f32 v[16:17], v[26:27], v[10:11] op_sel_hi:[1,0]
	v_fma_f32 v14, v10, v11, v30
	v_mul_f32_e32 v26, v26, v22
	v_mul_f32_e32 v24, v27, v22
	;; [unrolled: 1-line block ×3, first 2 shown]
	s_waitcnt vmcnt(3)
	v_cmp_gt_i32_e64 s[2:3], 0, v42
                                        ; implicit-def: $vgpr28_vgpr29
                                        ; implicit-def: $vgpr11
	s_and_saveexec_b64 s[4:5], s[2:3]
	s_xor_b64 s[4:5], exec, s[4:5]
	s_cbranch_execz .LBB3_9
; %bb.2:
	v_cmp_lt_i32_e64 s[2:3], -2, v42
                                        ; implicit-def: $vgpr32_vgpr33
                                        ; implicit-def: $sgpr30_sgpr31
                                        ; implicit-def: $vgpr11
	s_and_saveexec_b64 s[28:29], s[2:3]
	s_xor_b64 s[2:3], exec, s[28:29]
	s_cbranch_execz .LBB3_4
; %bb.3:
	s_mov_b32 s30, 0
	s_waitcnt vmcnt(2)
	v_fma_f32 v32, v30, v15, 0
	s_waitcnt vmcnt(1)
	v_fma_f32 v33, v30, v41, 0
	;; [unrolled: 2-line block ×3, first 2 shown]
	s_mov_b32 s31, s30
                                        ; implicit-def: $vgpr42
                                        ; implicit-def: $vgpr15
                                        ; implicit-def: $vgpr41
.LBB3_4:
	s_or_saveexec_b64 s[28:29], s[2:3]
	v_pk_mov_b32 v[28:29], s[30:31], s[30:31] op_sel:[0,1]
	s_xor_b64 exec, exec, s[28:29]
	s_cbranch_execz .LBB3_8
; %bb.5:
	s_mov_b32 s30, 0
	s_mov_b32 s31, s30
	v_cmp_eq_u32_e64 s[2:3], -2, v42
	v_pk_mov_b32 v[32:33], s[30:31], s[30:31] op_sel:[0,1]
	v_mov_b32_e32 v11, 0
	v_pk_mov_b32 v[28:29], s[30:31], s[30:31] op_sel:[0,1]
	s_and_saveexec_b64 s[30:31], s[2:3]
	s_cbranch_execz .LBB3_7
; %bb.6:
	s_load_dwordx2 s[2:3], s[14:15], 0x4
	s_load_dword s35, s[14:15], 0xc
	s_load_dwordx2 s[36:37], s[18:19], 0x0
	s_load_dword s33, s[18:19], 0x8
	s_waitcnt vmcnt(1)
	v_mov_b32_e32 v28, v41
	s_waitcnt vmcnt(0)
	v_mov_b32_e32 v29, v40
	v_mov_b32_e32 v44, v7
	s_waitcnt lgkmcnt(0)
	s_mov_b32 s34, s3
	s_load_dwordx2 s[38:39], s[22:23], 0x0
	s_load_dwordx2 s[40:41], s[20:21], 0x0
	;; [unrolled: 1-line block ×3, first 2 shown]
	s_load_dword s3, s[20:21], 0x8
	s_load_dword s45, s[22:23], 0x8
	v_mov_b32_e32 v45, v10
	v_mul_f32_e32 v32, 0.5, v15
	v_pk_mul_f32 v[40:41], v[28:29], 0.5 op_sel_hi:[1,0]
	v_add_f32_e32 v15, s37, v24
	v_pk_add_f32 v[44:45], v[44:45], s[34:35]
	v_mov_b32_e32 v27, v6
	s_mov_b32 s37, s2
	v_mul_f32_e32 v28, v40, v15
	s_waitcnt lgkmcnt(0)
	v_add_f32_e32 v15, s41, v18
	v_pk_mul_f32 v[44:45], v[40:41], v[44:45]
	v_pk_add_f32 v[48:49], v[26:27], s[36:37]
	v_mul_f32_e32 v42, v40, v15
	v_add_f32_e32 v15, s33, v22
	v_pk_fma_f32 v[48:49], v[32:33], v[48:49], 0 op_sel_hi:[0,1,0]
	v_mov_b32_e32 v29, v44
	v_mul_f32_e32 v46, v41, v15
	v_pk_add_f32 v[28:29], v[48:49], v[28:29]
	v_mov_b32_e32 v47, v45
	s_mov_b32 s44, s39
	s_load_dword s47, s[26:27], 0x8
	v_pk_add_f32 v[28:29], v[28:29], v[46:47]
	v_mov_b32_e32 v46, v19
	v_mov_b32_e32 v47, v17
	v_pk_add_f32 v[46:47], v[46:47], s[44:45]
	v_mov_b32_e32 v21, v18
	s_mov_b32 s41, s38
	v_add_f32_e32 v11, s42, v16
	v_pk_mul_f32 v[46:47], v[40:41], v[46:47]
	v_pk_add_f32 v[48:49], v[20:21], s[40:41]
	v_fma_f32 v11, v32, v11, 0
	v_pk_fma_f32 v[32:33], v[32:33], v[48:49], 0 op_sel_hi:[0,1,0]
	v_mov_b32_e32 v43, v46
	s_mov_b32 s46, s43
	v_pk_add_f32 v[32:33], v[32:33], v[42:43]
	v_mov_b32_e32 v42, v17
	v_mov_b32_e32 v43, v14
	v_add_f32_e32 v15, s3, v16
	s_waitcnt lgkmcnt(0)
	v_pk_add_f32 v[42:43], v[42:43], s[46:47]
	v_mul_f32_e32 v44, v41, v15
	v_pk_mul_f32 v[40:41], v[40:41], v[42:43]
	v_mov_b32_e32 v45, v47
	v_add_f32_e32 v11, v11, v40
	v_pk_add_f32 v[32:33], v[32:33], v[44:45]
	v_add_f32_e32 v11, v11, v41
.LBB3_7:
	s_or_b64 exec, exec, s[30:31]
.LBB3_8:
	s_or_b64 exec, exec, s[28:29]
                                        ; implicit-def: $vgpr41
                                        ; implicit-def: $vgpr15
                                        ; implicit-def: $vgpr42
.LBB3_9:
	s_or_saveexec_b64 s[28:29], s[4:5]
	v_cndmask_b32_e32 v50, v31, v23, vcc
	v_cndmask_b32_e64 v51, v35, v25, s[0:1]
	s_xor_b64 exec, exec, s[28:29]
	s_cbranch_execz .LBB3_11
; %bb.10:
	v_mov_b32_e32 v43, 0
	v_lshlrev_b64 v[28:29], 2, v[42:43]
	v_mov_b32_e32 v11, s13
	v_add_co_u32_e32 v44, vcc, s12, v28
	v_add_u32_e32 v28, s24, v42
	v_addc_co_u32_e32 v45, vcc, v11, v29, vcc
	v_ashrrev_i32_e32 v29, 31, v28
	v_lshlrev_b64 v[32:33], 2, v[28:29]
	v_add_co_u32_e32 v42, vcc, s12, v32
	v_addc_co_u32_e32 v43, vcc, v11, v33, vcc
	global_load_dword v29, v[44:45], off
	global_load_dword v33, v[42:43], off
	v_add_u32_e32 v42, s24, v28
	v_ashrrev_i32_e32 v43, 31, v42
	v_lshlrev_b64 v[44:45], 2, v[42:43]
	v_add_co_u32_e32 v44, vcc, s12, v44
	v_addc_co_u32_e32 v45, vcc, v11, v45, vcc
	global_load_dword v43, v[44:45], off
	v_add_u32_e32 v44, s24, v42
	v_ashrrev_i32_e32 v45, 31, v44
	v_lshlrev_b64 v[46:47], 2, v[44:45]
	v_add_co_u32_e32 v46, vcc, s12, v46
	v_addc_co_u32_e32 v47, vcc, v11, v47, vcc
	;; [unrolled: 6-line block ×3, first 2 shown]
	global_load_dword v28, v[46:47], off
	s_waitcnt vmcnt(6)
	v_mul_f32_e32 v11, v41, v41
	v_fmac_f32_e32 v11, v15, v15
	s_mov_b32 s30, 0xf800000
	s_waitcnt vmcnt(5)
	v_fmac_f32_e32 v11, v40, v40
	v_mul_f32_e32 v21, 0x4f800000, v11
	v_cmp_gt_f32_e64 s[0:1], s30, v11
	v_cndmask_b32_e64 v11, v11, v21, s[0:1]
	v_sqrt_f32_e32 v21, v11
	v_pk_mul_f32 v[40:41], v[40:41], 0.5 op_sel_hi:[1,0]
	v_add_u32_e32 v23, -1, v21
	v_fma_f32 v27, -v23, v21, v11
	v_cmp_ge_f32_e32 vcc, 0, v27
	v_add_u32_e32 v25, 1, v21
	v_fma_f32 v31, -v25, v21, v11
	v_cndmask_b32_e32 v21, v21, v23, vcc
	s_waitcnt vmcnt(4)
	v_mul_f32_e32 v23, 0.5, v29
	s_waitcnt vmcnt(3)
	v_div_scale_f32 v27, s[2:3], v29, v29, v33
	v_rcp_f32_e32 v35, v27
	v_div_scale_f32 v32, vcc, v33, v29, v33
	v_fma_f32 v52, -v27, v35, 1.0
	v_fmac_f32_e32 v35, v52, v35
	s_waitcnt vmcnt(2)
	v_div_scale_f32 v42, s[2:3], v29, v29, v43
	v_rcp_f32_e32 v46, v42
	v_div_scale_f32 v44, s[2:3], v43, v29, v43
	v_mul_f32_e32 v53, v32, v35
	v_fma_f32 v52, -v42, v46, 1.0
	v_fmac_f32_e32 v46, v52, v46
	s_waitcnt vmcnt(1)
	v_div_scale_f32 v47, s[4:5], v29, v29, v45
	v_rcp_f32_e32 v49, v47
	v_fma_f32 v54, -v27, v53, v32
	v_mul_f32_e32 v55, v44, v46
	v_div_scale_f32 v48, s[4:5], v45, v29, v45
	v_fma_f32 v52, -v47, v49, 1.0
	v_fmac_f32_e32 v49, v52, v49
	v_fmac_f32_e32 v53, v54, v35
	v_fma_f32 v52, -v42, v55, v44
	v_mul_f32_e32 v54, v48, v49
	v_fma_f32 v27, -v27, v53, v32
	v_fmac_f32_e32 v55, v52, v46
	v_fma_f32 v32, -v47, v54, v48
	v_div_fmas_f32 v27, v27, v35, v53
	v_fma_f32 v35, -v42, v55, v44
	s_mov_b64 vcc, s[2:3]
	v_fmac_f32_e32 v54, v32, v49
	v_div_fmas_f32 v32, v35, v46, v55
	v_fma_f32 v35, -v47, v54, v48
	v_div_fixup_f32 v42, v32, v29, v43
	s_mov_b64 vcc, s[4:5]
	v_div_fixup_f32 v27, v27, v29, v33
	v_div_fmas_f32 v32, v35, v49, v54
	v_mul_f32_e32 v44, v42, v42
	v_div_fixup_f32 v35, v32, v29, v45
	v_fmac_f32_e32 v44, v27, v27
	v_fmac_f32_e32 v44, v35, v35
	s_waitcnt vmcnt(0)
	v_fma_f32 v23, -v23, v44, v28
	v_mul_f32_e32 v46, 0x3ecccccc, v23
	v_mul_f32_e32 v32, 0x3fb33333, v46
	v_div_scale_f32 v47, s[2:3], v29, v29, v32
	v_rcp_f32_e32 v48, v47
	v_cmp_lt_f32_e32 vcc, 0, v31
	v_cndmask_b32_e32 v21, v21, v25, vcc
	v_mul_f32_e32 v25, 0x37800000, v21
	v_cndmask_b32_e64 v21, v21, v25, s[0:1]
	v_fma_f32 v25, -v47, v48, 1.0
	v_fmac_f32_e32 v48, v25, v48
	v_div_scale_f32 v25, vcc, v32, v29, v32
	v_mul_f32_e32 v31, v25, v48
	v_fma_f32 v49, -v47, v31, v25
	v_fmac_f32_e32 v31, v49, v48
	v_fma_f32 v25, -v47, v31, v25
	v_div_fmas_f32 v25, v25, v48, v31
	v_div_fixup_f32 v25, v25, v29, v32
	v_mul_f32_e32 v31, 0x4f800000, v25
	v_cmp_gt_f32_e32 vcc, s30, v25
	v_cndmask_b32_e32 v25, v25, v31, vcc
	v_sqrt_f32_e32 v31, v25
	v_mov_b32_e32 v52, 0x260
	v_cmp_class_f32_e64 s[0:1], v11, v52
	v_cndmask_b32_e64 v11, v21, v11, s[0:1]
	v_add_u32_e32 v21, -1, v31
	v_fma_f32 v32, -v21, v31, v25
	v_cmp_ge_f32_e64 s[0:1], 0, v32
	v_add_u32_e32 v32, 1, v31
	v_cndmask_b32_e64 v21, v31, v21, s[0:1]
	v_fma_f32 v31, -v32, v31, v25
	v_cmp_lt_f32_e64 s[0:1], 0, v31
	v_cndmask_b32_e64 v21, v21, v32, s[0:1]
	v_mul_f32_e32 v31, 0x37800000, v21
	v_cndmask_b32_e32 v21, v21, v31, vcc
	v_cmp_class_f32_e32 vcc, v25, v52
	v_mov_b32_e32 v31, v28
	v_cndmask_b32_e32 v21, v21, v25, vcc
	v_fmac_f32_e32 v31, 0x3ecccccc, v23
	v_mul_f32_e32 v23, 0x4f800000, v44
	v_cmp_gt_f32_e32 vcc, s30, v44
	v_cndmask_b32_e32 v23, v44, v23, vcc
	v_sqrt_f32_e32 v53, v23
	v_fma_f32 v49, v43, v42, v46
	v_mul_f32_e32 v47, v45, v42
	v_mul_f32_e32 v32, v27, v31
	;; [unrolled: 1-line block ×4, first 2 shown]
	v_add_u32_e32 v31, -1, v53
	v_fma_f32 v25, v33, v27, v46
	v_fmac_f32_e32 v46, v45, v35
	v_fma_f32 v35, -v31, v53, v23
	v_cmp_ge_f32_e64 s[0:1], 0, v35
	v_add_u32_e32 v35, 1, v53
	v_cndmask_b32_e64 v31, v53, v31, s[0:1]
	v_fma_f32 v53, -v35, v53, v23
	v_cmp_lt_f32_e64 s[0:1], 0, v53
	v_cndmask_b32_e64 v31, v31, v35, s[0:1]
	v_mul_f32_e32 v35, 0x37800000, v31
	v_cndmask_b32_e32 v31, v31, v35, vcc
	v_cmp_class_f32_e32 vcc, v23, v52
	v_cndmask_b32_e32 v23, v31, v23, vcc
	v_add_f32_e32 v23, v50, v23
	v_mul_f32_e32 v11, 0xbe4ccccd, v11
	v_add_f32_e32 v23, v51, v23
	v_mul_f32_e32 v11, 0.5, v11
	v_add_f32_e32 v21, v23, v21
	v_mul_f32_e32 v48, v43, v27
	v_mul_f32_e32 v52, v11, v21
	v_fma_f32 v58, v27, v45, v16
	v_pk_add_f32 v[28:29], v[12:13], v[28:29] neg_lo:[0,1] neg_hi:[0,1]
	v_mov_b32_e32 v27, v6
	v_mul_f32_e32 v54, 0.5, v15
	v_add_f32_e32 v56, v20, v25
	v_pk_fma_f32 v[28:29], v[28:29], v[52:53], 0 op_sel_hi:[1,0,0]
	v_pk_add_f32 v[60:61], v[26:27], v[32:33]
	v_mov_b32_e32 v25, v7
	v_pk_fma_f32 v[28:29], v[54:55], v[60:61], v[28:29] op_sel_hi:[0,1,1]
	v_pk_add_f32 v[60:61], v[24:25], v[42:43]
	v_mov_b32_e32 v23, v10
	v_mov_b32_e32 v42, v33
	v_sub_f32_e32 v11, v10, v45
	v_pk_fma_f32 v[28:29], v[40:41], v[60:61], v[28:29] op_sel:[1,0,0]
	v_pk_add_f32 v[44:45], v[22:23], v[44:45]
	v_mov_b32_e32 v15, v17
	v_pk_add_f32 v[32:33], v[6:7], v[42:43] neg_lo:[0,1] neg_hi:[0,1]
	v_pk_add_f32 v[42:43], v[18:19], v[48:49]
	v_fma_f32 v11, v11, v52, 0
	v_pk_fma_f32 v[28:29], v[40:41], v[44:45], v[28:29] op_sel_hi:[0,1,1]
	v_pk_add_f32 v[44:45], v[14:15], v[46:47]
	v_pk_fma_f32 v[32:33], v[32:33], v[52:53], 0 op_sel_hi:[1,0,0]
	v_mov_b32_e32 v57, v42
	v_fmac_f32_e32 v11, v54, v58
	v_pk_mul_f32 v[46:47], v[40:41], v[44:45]
	v_pk_fma_f32 v[32:33], v[54:55], v[56:57], v[32:33] op_sel_hi:[0,1,1]
	v_add_f32_e32 v11, v47, v11
	v_pk_fma_f32 v[32:33], v[40:41], v[42:43], v[32:33] op_sel:[1,0,0]
	v_mov_b32_e32 v59, v45
	v_pk_fma_f32 v[32:33], v[40:41], v[58:59], v[32:33] op_sel_hi:[0,1,1]
	v_add_f32_e32 v11, v46, v11
.LBB3_11:
	s_or_b64 exec, exec, s[28:29]
	s_waitcnt vmcnt(2)
	v_mov_b32_e32 v15, s7
	v_add_co_u32_e32 v38, vcc, s6, v38
	s_mul_i32 s30, s24, -3
	v_addc_co_u32_e32 v39, vcc, v39, v15, vcc
	v_add_u32_e32 v34, s30, v34
	v_add_co_u32_e32 v42, vcc, s6, v36
	v_ashrrev_i32_e32 v35, 31, v34
	v_addc_co_u32_e32 v43, vcc, v37, v15, vcc
	v_lshlrev_b64 v[36:37], 2, v[34:35]
	v_add_u32_e32 v34, s25, v34
	v_mov_b32_e32 v15, s11
	v_add_co_u32_e32 v44, vcc, s10, v36
	v_ashrrev_i32_e32 v35, 31, v34
	v_addc_co_u32_e32 v45, vcc, v15, v37, vcc
	v_lshlrev_b64 v[36:37], 2, v[34:35]
	v_add_co_u32_e32 v46, vcc, s10, v36
	global_load_dword v40, v[38:39], off
	v_addc_co_u32_e32 v47, vcc, v15, v37, vcc
	global_load_dword v38, v[42:43], off
	global_load_dword v36, v[44:45], off
	;; [unrolled: 1-line block ×3, first 2 shown]
	s_waitcnt vmcnt(3)
	v_cmp_gt_i32_e32 vcc, 0, v40
	s_and_saveexec_b64 s[0:1], vcc
	s_xor_b64 s[0:1], exec, s[0:1]
	s_cbranch_execz .LBB3_19
; %bb.12:
	v_cmp_lt_i32_e32 vcc, -2, v40
	s_and_saveexec_b64 s[2:3], vcc
	s_xor_b64 s[2:3], exec, s[2:3]
	s_cbranch_execz .LBB3_14
; %bb.13:
	s_waitcnt vmcnt(1)
	v_mov_b32_e32 v39, v36
	v_pk_fma_f32 v[32:33], v[30:31], v[38:39], v[32:33] op_sel_hi:[0,1,1]
	s_waitcnt vmcnt(0)
	v_fmac_f32_e32 v11, v30, v37
                                        ; implicit-def: $vgpr40
                                        ; implicit-def: $vgpr38
                                        ; implicit-def: $vgpr36
.LBB3_14:
	s_andn2_saveexec_b64 s[2:3], s[2:3]
	s_cbranch_execz .LBB3_18
; %bb.15:
	v_cmp_eq_u32_e32 vcc, -2, v40
	s_and_saveexec_b64 s[4:5], vcc
	s_cbranch_execz .LBB3_17
; %bb.16:
	s_load_dwordx2 s[28:29], s[14:15], 0x4
	s_load_dword s35, s[14:15], 0xc
	s_load_dwordx2 s[36:37], s[18:19], 0x0
	s_load_dword s34, s[18:19], 0x8
	s_load_dwordx2 s[38:39], s[20:21], 0x0
	s_waitcnt lgkmcnt(0)
	s_load_dwordx2 s[40:41], s[26:27], 0x0
	s_load_dword s42, s[20:21], 0x8
	s_load_dwordx2 s[44:45], s[22:23], 0x0
	s_load_dword s43, s[22:23], 0x8
	s_load_dword s47, s[26:27], 0x8
	s_waitcnt lgkmcnt(0)
	s_mov_b32 s46, s41
	v_add_f32_e32 v15, s40, v16
	v_mov_b32_e32 v27, v6
	s_mov_b32 s40, s36
	s_mov_b32 s41, s28
	s_waitcnt vmcnt(2)
	v_mul_f32_e32 v38, 0.5, v38
	v_pk_add_f32 v[40:41], v[26:27], s[40:41]
	v_mov_b32_e32 v25, v7
	s_mov_b32 s28, s37
	s_waitcnt vmcnt(0)
	v_pk_mul_f32 v[36:37], v[36:37], 0.5 op_sel_hi:[1,0]
	v_pk_fma_f32 v[28:29], v[38:39], v[40:41], v[28:29] op_sel_hi:[0,1,1]
	v_pk_add_f32 v[40:41], v[24:25], s[28:29]
	v_mov_b32_e32 v21, v18
	s_mov_b32 s28, s38
	s_mov_b32 s29, s44
	v_pk_fma_f32 v[28:29], v[36:37], v[40:41], v[28:29] op_sel_hi:[0,1,1]
	v_pk_add_f32 v[40:41], v[20:21], s[28:29]
	s_mov_b32 s44, s39
	v_fmac_f32_e32 v11, v38, v15
	v_pk_fma_f32 v[32:33], v[38:39], v[40:41], v[32:33] op_sel_hi:[0,1,1]
	v_pk_add_f32 v[38:39], v[18:19], s[44:45]
	v_mov_b32_e32 v23, v10
	v_pk_fma_f32 v[32:33], v[36:37], v[38:39], v[32:33] op_sel_hi:[0,1,1]
	v_pk_add_f32 v[38:39], v[22:23], s[34:35]
	v_pk_fma_f32 v[28:29], v[36:37], v[38:39], v[28:29] op_sel:[1,0,0]
	v_pk_add_f32 v[38:39], v[16:17], s[42:43]
	v_pk_fma_f32 v[32:33], v[36:37], v[38:39], v[32:33] op_sel:[1,0,0]
	v_mov_b32_e32 v38, v17
	v_mov_b32_e32 v39, v14
	v_pk_add_f32 v[38:39], v[38:39], s[46:47]
	v_pk_mul_f32 v[36:37], v[36:37], v[38:39]
	v_add_f32_e32 v11, v11, v36
	v_add_f32_e32 v11, v11, v37
.LBB3_17:
	s_or_b64 exec, exec, s[4:5]
.LBB3_18:
	s_or_b64 exec, exec, s[2:3]
                                        ; implicit-def: $vgpr36
                                        ; implicit-def: $vgpr38
                                        ; implicit-def: $vgpr40
.LBB3_19:
	s_andn2_saveexec_b64 s[28:29], s[0:1]
	s_cbranch_execz .LBB3_21
; %bb.20:
	v_mov_b32_e32 v41, 0
	v_lshlrev_b64 v[42:43], 2, v[40:41]
	v_add_u32_e32 v40, s24, v40
	v_mov_b32_e32 v15, s13
	v_add_co_u32_e32 v42, vcc, s12, v42
	v_ashrrev_i32_e32 v41, 31, v40
	v_addc_co_u32_e32 v43, vcc, v15, v43, vcc
	v_lshlrev_b64 v[44:45], 2, v[40:41]
	v_add_co_u32_e32 v44, vcc, s12, v44
	v_addc_co_u32_e32 v45, vcc, v15, v45, vcc
	global_load_dword v47, v[42:43], off
	global_load_dword v41, v[44:45], off
	v_add_u32_e32 v42, s24, v40
	v_ashrrev_i32_e32 v43, 31, v42
	v_lshlrev_b64 v[44:45], 2, v[42:43]
	v_add_u32_e32 v42, s24, v42
	v_add_co_u32_e32 v44, vcc, s12, v44
	v_ashrrev_i32_e32 v43, 31, v42
	v_addc_co_u32_e32 v45, vcc, v15, v45, vcc
	v_lshlrev_b64 v[48:49], 2, v[42:43]
	global_load_dword v45, v[44:45], off
	v_add_co_u32_e32 v48, vcc, s12, v48
	v_addc_co_u32_e32 v49, vcc, v15, v49, vcc
	global_load_dword v43, v[48:49], off
	v_add_u32_e32 v48, s24, v42
	v_ashrrev_i32_e32 v49, 31, v48
	v_lshlrev_b64 v[48:49], 2, v[48:49]
	v_add_co_u32_e32 v48, vcc, s12, v48
	v_addc_co_u32_e32 v49, vcc, v15, v49, vcc
	global_load_dword v46, v[48:49], off
	s_waitcnt vmcnt(6)
	v_mul_f32_e32 v15, v36, v36
	v_fmac_f32_e32 v15, v38, v38
	s_mov_b32 s31, 0xf800000
	s_waitcnt vmcnt(5)
	v_fmac_f32_e32 v15, v37, v37
	v_mul_f32_e32 v21, 0x4f800000, v15
	v_cmp_gt_f32_e64 s[0:1], s31, v15
	v_cndmask_b32_e64 v15, v15, v21, s[0:1]
	v_sqrt_f32_e32 v21, v15
	v_mul_f32_e32 v38, 0.5, v38
	v_mov_b32_e32 v60, v37
	v_mov_b32_e32 v61, v36
	v_add_u32_e32 v23, -1, v21
	v_fma_f32 v27, -v23, v21, v15
	v_cmp_ge_f32_e32 vcc, 0, v27
	v_add_u32_e32 v25, 1, v21
	v_fma_f32 v31, -v25, v21, v15
	v_cndmask_b32_e32 v21, v21, v23, vcc
	v_pk_mul_f32 v[36:37], v[60:61], 0.5 op_sel_hi:[1,0]
	s_waitcnt vmcnt(4)
	v_mul_f32_e32 v23, 0.5, v47
	s_waitcnt vmcnt(3)
	v_div_scale_f32 v27, s[2:3], v47, v47, v41
	v_rcp_f32_e32 v39, v27
	v_div_scale_f32 v35, vcc, v41, v47, v41
	v_fma_f32 v53, -v27, v39, 1.0
	v_fmac_f32_e32 v39, v53, v39
	v_mul_f32_e32 v54, v35, v39
	v_fma_f32 v55, -v27, v54, v35
	v_fmac_f32_e32 v54, v55, v39
	s_waitcnt vmcnt(2)
	v_div_scale_f32 v40, s[2:3], v47, v47, v45
	v_rcp_f32_e32 v44, v40
	v_div_scale_f32 v42, s[2:3], v45, v47, v45
	s_waitcnt vmcnt(1)
	v_div_scale_f32 v48, s[4:5], v47, v47, v43
	v_rcp_f32_e32 v52, v48
	v_fma_f32 v53, -v40, v44, 1.0
	v_fmac_f32_e32 v44, v53, v44
	v_mul_f32_e32 v56, v42, v44
	v_fma_f32 v53, -v48, v52, 1.0
	v_div_scale_f32 v49, s[4:5], v43, v47, v43
	v_fmac_f32_e32 v52, v53, v52
	v_fma_f32 v53, -v40, v56, v42
	v_mul_f32_e32 v55, v49, v52
	v_fma_f32 v27, -v27, v54, v35
	v_fmac_f32_e32 v56, v53, v44
	v_fma_f32 v35, -v48, v55, v49
	v_div_fmas_f32 v27, v27, v39, v54
	v_fma_f32 v39, -v40, v56, v42
	s_mov_b64 vcc, s[2:3]
	v_fmac_f32_e32 v55, v35, v52
	v_div_fmas_f32 v35, v39, v44, v56
	v_fma_f32 v39, -v48, v55, v49
	v_div_fixup_f32 v35, v35, v47, v45
	s_mov_b64 vcc, s[4:5]
	v_div_fixup_f32 v27, v27, v47, v41
	v_div_fmas_f32 v39, v39, v52, v55
	v_mul_f32_e32 v42, v35, v35
	v_div_fixup_f32 v39, v39, v47, v43
	v_fmac_f32_e32 v42, v27, v27
	v_fmac_f32_e32 v42, v39, v39
	s_waitcnt vmcnt(0)
	v_fma_f32 v23, -v23, v42, v46
	v_mul_f32_e32 v48, 0x3ecccccc, v23
	v_mul_f32_e32 v40, 0x3fb33333, v48
	v_div_scale_f32 v44, s[2:3], v47, v47, v40
	v_rcp_f32_e32 v49, v44
	v_cmp_lt_f32_e32 vcc, 0, v31
	v_cndmask_b32_e32 v21, v21, v25, vcc
	v_mul_f32_e32 v25, 0x37800000, v21
	v_cndmask_b32_e64 v21, v21, v25, s[0:1]
	v_fma_f32 v25, -v44, v49, 1.0
	v_fmac_f32_e32 v49, v25, v49
	v_div_scale_f32 v25, vcc, v40, v47, v40
	v_mul_f32_e32 v31, v25, v49
	v_fma_f32 v52, -v44, v31, v25
	v_fmac_f32_e32 v31, v52, v49
	v_fma_f32 v25, -v44, v31, v25
	v_div_fmas_f32 v25, v25, v49, v31
	v_div_fixup_f32 v25, v25, v47, v40
	v_mul_f32_e32 v31, 0x4f800000, v25
	v_cmp_gt_f32_e32 vcc, s31, v25
	v_cndmask_b32_e32 v25, v25, v31, vcc
	v_sqrt_f32_e32 v31, v25
	v_mov_b32_e32 v54, 0x260
	v_cmp_class_f32_e64 s[0:1], v15, v54
	v_cndmask_b32_e64 v15, v21, v15, s[0:1]
	v_add_u32_e32 v21, -1, v31
	v_fma_f32 v40, -v21, v31, v25
	v_cmp_ge_f32_e64 s[0:1], 0, v40
	v_add_u32_e32 v40, 1, v31
	v_cndmask_b32_e64 v21, v31, v21, s[0:1]
	v_fma_f32 v31, -v40, v31, v25
	v_cmp_lt_f32_e64 s[0:1], 0, v31
	v_cndmask_b32_e64 v21, v21, v40, s[0:1]
	v_mul_f32_e32 v31, 0x37800000, v21
	v_cndmask_b32_e32 v21, v21, v31, vcc
	v_cmp_class_f32_e32 vcc, v25, v54
	v_mov_b32_e32 v31, v46
	v_cndmask_b32_e32 v21, v21, v25, vcc
	v_fmac_f32_e32 v31, 0x3ecccccc, v23
	v_mul_f32_e32 v23, 0x4f800000, v42
	v_cmp_gt_f32_e32 vcc, s31, v42
	v_cndmask_b32_e32 v23, v42, v23, vcc
	v_fma_f32 v53, v45, v35, v48
	v_mul_f32_e32 v49, v43, v35
	v_mul_f32_e32 v44, v35, v31
	v_sqrt_f32_e32 v35, v23
	v_mul_f32_e32 v40, v27, v31
	v_mul_f32_e32 v42, v39, v31
	v_fma_f32 v25, v41, v27, v48
	v_add_u32_e32 v31, -1, v35
	v_fmac_f32_e32 v48, v43, v39
	v_fma_f32 v39, -v31, v35, v23
	v_cmp_ge_f32_e64 s[0:1], 0, v39
	v_add_u32_e32 v39, 1, v35
	v_cndmask_b32_e64 v31, v35, v31, s[0:1]
	v_fma_f32 v35, -v39, v35, v23
	v_cmp_lt_f32_e64 s[0:1], 0, v35
	v_cndmask_b32_e64 v31, v31, v39, s[0:1]
	v_mul_f32_e32 v35, 0x37800000, v31
	v_cndmask_b32_e32 v31, v31, v35, vcc
	v_cmp_class_f32_e32 vcc, v23, v54
	v_cndmask_b32_e32 v23, v31, v23, vcc
	v_add_f32_e32 v23, v50, v23
	v_mul_f32_e32 v15, 0xbe4ccccd, v15
	v_add_f32_e32 v23, v51, v23
	v_mul_f32_e32 v15, 0.5, v15
	v_add_f32_e32 v21, v23, v21
	v_mul_f32_e32 v52, v45, v27
	v_mul_f32_e32 v54, v15, v21
	v_fma_f32 v58, v27, v43, v16
	v_pk_add_f32 v[46:47], v[12:13], v[46:47] neg_lo:[0,1] neg_hi:[0,1]
	v_mov_b32_e32 v27, v6
	v_add_f32_e32 v56, v20, v25
	v_pk_fma_f32 v[28:29], v[46:47], v[54:55], v[28:29] op_sel_hi:[1,0,1]
	v_pk_add_f32 v[46:47], v[26:27], v[40:41]
	v_mov_b32_e32 v25, v7
	v_pk_fma_f32 v[28:29], v[38:39], v[46:47], v[28:29] op_sel_hi:[0,1,1]
	v_pk_add_f32 v[46:47], v[24:25], v[44:45]
	v_mov_b32_e32 v44, v41
	v_pk_add_f32 v[40:41], v[6:7], v[44:45] neg_lo:[0,1] neg_hi:[0,1]
	v_sub_f32_e32 v15, v10, v43
	v_pk_fma_f32 v[32:33], v[40:41], v[54:55], v[32:33] op_sel_hi:[1,0,1]
	v_pk_add_f32 v[40:41], v[18:19], v[52:53]
	v_fmac_f32_e32 v11, v15, v54
	v_mov_b32_e32 v57, v40
	v_mov_b32_e32 v23, v10
	v_fmac_f32_e32 v11, v38, v58
	v_pk_fma_f32 v[28:29], v[36:37], v[46:47], v[28:29] op_sel:[1,0,0]
	v_pk_fma_f32 v[32:33], v[38:39], v[56:57], v[32:33] op_sel_hi:[0,1,1]
	v_pk_add_f32 v[38:39], v[22:23], v[42:43]
	v_mov_b32_e32 v15, v17
	v_pk_fma_f32 v[28:29], v[36:37], v[38:39], v[28:29] op_sel_hi:[0,1,1]
	v_pk_add_f32 v[38:39], v[14:15], v[48:49]
	v_pk_fma_f32 v[32:33], v[36:37], v[40:41], v[32:33] op_sel:[1,0,0]
	v_pk_mul_f32 v[40:41], v[36:37], v[38:39]
	v_add_f32_e32 v11, v41, v11
	v_mov_b32_e32 v59, v39
	v_pk_fma_f32 v[32:33], v[36:37], v[58:59], v[32:33] op_sel_hi:[0,1,1]
	v_add_f32_e32 v11, v40, v11
.LBB3_21:
	s_or_b64 exec, exec, s[28:29]
	v_mad_u64_u32 v[34:35], s[0:1], s24, -7, v[34:35]
	v_ashrrev_i32_e32 v35, 31, v34
	s_waitcnt vmcnt(0)
	v_lshlrev_b64 v[36:37], 2, v[34:35]
	v_mov_b32_e32 v15, s9
	v_add_co_u32_e32 v38, vcc, s8, v36
	v_addc_co_u32_e32 v39, vcc, v15, v37, vcc
	v_add_u32_e32 v34, s25, v34
	v_mov_b32_e32 v15, s11
	v_add_co_u32_e32 v40, vcc, s10, v36
	v_ashrrev_i32_e32 v35, 31, v34
	v_addc_co_u32_e32 v41, vcc, v15, v37, vcc
	v_lshlrev_b64 v[36:37], 2, v[34:35]
	v_add_u32_e32 v34, s25, v34
	v_add_co_u32_e32 v44, vcc, s10, v36
	v_ashrrev_i32_e32 v35, 31, v34
	v_addc_co_u32_e32 v45, vcc, v15, v37, vcc
	v_lshlrev_b64 v[36:37], 2, v[34:35]
	v_add_co_u32_e32 v46, vcc, s10, v36
	global_load_dword v38, v[38:39], off
	v_addc_co_u32_e32 v47, vcc, v15, v37, vcc
	global_load_dword v42, v[40:41], off
	global_load_dword v36, v[44:45], off
	;; [unrolled: 1-line block ×3, first 2 shown]
	s_waitcnt vmcnt(3)
	v_cmp_gt_i32_e32 vcc, 0, v38
	s_and_saveexec_b64 s[0:1], vcc
	s_xor_b64 s[0:1], exec, s[0:1]
	s_cbranch_execz .LBB3_29
; %bb.22:
	v_cmp_lt_i32_e32 vcc, -2, v38
	s_and_saveexec_b64 s[2:3], vcc
	s_xor_b64 s[2:3], exec, s[2:3]
	s_cbranch_execz .LBB3_24
; %bb.23:
	s_waitcnt vmcnt(1)
	v_mov_b32_e32 v43, v36
	v_pk_fma_f32 v[32:33], v[30:31], v[42:43], v[32:33] op_sel_hi:[0,1,1]
	s_waitcnt vmcnt(0)
	v_fmac_f32_e32 v11, v30, v37
                                        ; implicit-def: $vgpr38
                                        ; implicit-def: $vgpr42
                                        ; implicit-def: $vgpr36
.LBB3_24:
	s_andn2_saveexec_b64 s[2:3], s[2:3]
	s_cbranch_execz .LBB3_28
; %bb.25:
	v_cmp_eq_u32_e32 vcc, -2, v38
	s_and_saveexec_b64 s[4:5], vcc
	s_cbranch_execz .LBB3_27
; %bb.26:
	s_load_dwordx2 s[28:29], s[14:15], 0x4
	s_load_dword s35, s[14:15], 0xc
	s_load_dwordx2 s[36:37], s[18:19], 0x0
	s_load_dword s34, s[18:19], 0x8
	s_load_dwordx2 s[38:39], s[20:21], 0x0
	s_waitcnt lgkmcnt(0)
	s_load_dwordx2 s[40:41], s[26:27], 0x0
	s_load_dword s42, s[20:21], 0x8
	s_load_dwordx2 s[44:45], s[22:23], 0x0
	s_load_dword s43, s[22:23], 0x8
	s_load_dword s47, s[26:27], 0x8
	s_waitcnt lgkmcnt(0)
	s_mov_b32 s46, s41
	v_add_f32_e32 v15, s40, v16
	v_mov_b32_e32 v27, v6
	s_mov_b32 s40, s36
	s_mov_b32 s41, s28
	s_waitcnt vmcnt(2)
	v_mul_f32_e32 v38, 0.5, v42
	v_pk_add_f32 v[40:41], v[26:27], s[40:41]
	v_mov_b32_e32 v25, v7
	s_mov_b32 s28, s37
	s_waitcnt vmcnt(0)
	v_pk_mul_f32 v[36:37], v[36:37], 0.5 op_sel_hi:[1,0]
	v_pk_fma_f32 v[28:29], v[38:39], v[40:41], v[28:29] op_sel_hi:[0,1,1]
	v_pk_add_f32 v[40:41], v[24:25], s[28:29]
	v_mov_b32_e32 v23, v10
	v_pk_fma_f32 v[28:29], v[36:37], v[40:41], v[28:29] op_sel_hi:[0,1,1]
	v_pk_add_f32 v[40:41], v[22:23], s[34:35]
	v_mov_b32_e32 v21, v18
	s_mov_b32 s28, s38
	s_mov_b32 s29, s44
	v_pk_fma_f32 v[28:29], v[36:37], v[40:41], v[28:29] op_sel:[1,0,0]
	v_pk_add_f32 v[40:41], v[20:21], s[28:29]
	s_mov_b32 s44, s39
	v_fmac_f32_e32 v11, v38, v15
	v_pk_fma_f32 v[32:33], v[38:39], v[40:41], v[32:33] op_sel_hi:[0,1,1]
	v_pk_add_f32 v[38:39], v[18:19], s[44:45]
	v_pk_fma_f32 v[32:33], v[36:37], v[38:39], v[32:33] op_sel_hi:[0,1,1]
	v_pk_add_f32 v[38:39], v[16:17], s[42:43]
	v_pk_fma_f32 v[32:33], v[36:37], v[38:39], v[32:33] op_sel:[1,0,0]
	v_mov_b32_e32 v38, v17
	v_mov_b32_e32 v39, v14
	v_pk_add_f32 v[38:39], v[38:39], s[46:47]
	v_pk_mul_f32 v[36:37], v[36:37], v[38:39]
	v_add_f32_e32 v11, v11, v36
	v_add_f32_e32 v11, v11, v37
.LBB3_27:
	s_or_b64 exec, exec, s[4:5]
.LBB3_28:
	s_or_b64 exec, exec, s[2:3]
                                        ; implicit-def: $vgpr36
                                        ; implicit-def: $vgpr42
                                        ; implicit-def: $vgpr38
.LBB3_29:
	s_andn2_saveexec_b64 s[2:3], s[0:1]
	s_cbranch_execz .LBB3_31
; %bb.30:
	v_mov_b32_e32 v39, 0
	v_lshlrev_b64 v[40:41], 2, v[38:39]
	v_add_u32_e32 v38, s24, v38
	v_mov_b32_e32 v15, s13
	v_add_co_u32_e32 v40, vcc, s12, v40
	v_ashrrev_i32_e32 v39, 31, v38
	v_addc_co_u32_e32 v41, vcc, v15, v41, vcc
	v_lshlrev_b64 v[44:45], 2, v[38:39]
	v_add_co_u32_e32 v46, vcc, s12, v44
	v_add_u32_e32 v44, s24, v38
	v_addc_co_u32_e32 v47, vcc, v15, v45, vcc
	v_ashrrev_i32_e32 v45, 31, v44
	v_lshlrev_b64 v[38:39], 2, v[44:45]
	v_add_co_u32_e32 v48, vcc, s12, v38
	v_addc_co_u32_e32 v49, vcc, v15, v39, vcc
	global_load_dword v45, v[40:41], off
	global_load_dword v38, v[46:47], off
	;; [unrolled: 1-line block ×3, first 2 shown]
	v_add_u32_e32 v46, s24, v44
	v_ashrrev_i32_e32 v47, 31, v46
	v_lshlrev_b64 v[40:41], 2, v[46:47]
	v_add_co_u32_e32 v40, vcc, s12, v40
	v_addc_co_u32_e32 v41, vcc, v15, v41, vcc
	global_load_dword v40, v[40:41], off
	v_add_u32_e32 v46, s24, v46
	v_ashrrev_i32_e32 v47, 31, v46
	v_lshlrev_b64 v[46:47], 2, v[46:47]
	v_add_co_u32_e32 v46, vcc, s12, v46
	v_addc_co_u32_e32 v47, vcc, v15, v47, vcc
	global_load_dword v44, v[46:47], off
	s_waitcnt vmcnt(6)
	v_mul_f32_e32 v15, v36, v36
	v_fmac_f32_e32 v15, v42, v42
	s_mov_b32 s28, 0xf800000
	s_waitcnt vmcnt(5)
	v_fmac_f32_e32 v15, v37, v37
	v_mul_f32_e32 v21, 0x4f800000, v15
	v_cmp_gt_f32_e32 vcc, s28, v15
	v_cndmask_b32_e32 v15, v15, v21, vcc
	v_sqrt_f32_e32 v21, v15
	v_mov_b32_e32 v31, 0x260
	v_mul_f32_e32 v42, 0.5, v42
	v_mul_f32_e32 v36, 0.5, v36
	v_add_u32_e32 v23, -1, v21
	v_add_u32_e32 v25, 1, v21
	v_fma_f32 v27, -v23, v21, v15
	v_fma_f32 v35, -v25, v21, v15
	v_cmp_ge_f32_e64 s[0:1], 0, v27
	v_cndmask_b32_e64 v21, v21, v23, s[0:1]
	v_cmp_lt_f32_e64 s[0:1], 0, v35
	v_cndmask_b32_e64 v21, v21, v25, s[0:1]
	v_mul_f32_e32 v23, 0x37800000, v21
	v_cndmask_b32_e32 v21, v21, v23, vcc
	v_cmp_class_f32_e32 vcc, v15, v31
	v_cndmask_b32_e32 v15, v21, v15, vcc
	v_mul_f32_e32 v15, 0xbe4ccccd, v15
	v_mul_f32_e32 v15, 0.5, v15
	s_waitcnt vmcnt(4)
	v_mul_f32_e32 v21, 0.5, v45
	s_waitcnt vmcnt(3)
	v_div_scale_f32 v23, s[0:1], v45, v45, v38
	v_rcp_f32_e32 v27, v23
	s_waitcnt vmcnt(2)
	v_div_scale_f32 v35, s[4:5], v45, v45, v39
	v_rcp_f32_e32 v47, v35
	v_fma_f32 v48, -v23, v27, 1.0
	v_div_scale_f32 v25, s[0:1], v38, v45, v38
	s_waitcnt vmcnt(1)
	v_div_scale_f32 v41, s[4:5], v45, v45, v40
	v_rcp_f32_e32 v46, v41
	v_fmac_f32_e32 v27, v48, v27
	v_div_scale_f32 v43, vcc, v40, v45, v40
	v_fma_f32 v49, -v41, v46, 1.0
	v_fma_f32 v48, -v35, v47, 1.0
	v_mul_f32_e32 v52, v25, v27
	v_fmac_f32_e32 v46, v49, v46
	v_fmac_f32_e32 v47, v48, v47
	v_fma_f32 v48, -v23, v52, v25
	v_mul_f32_e32 v49, v43, v46
	v_fmac_f32_e32 v52, v48, v27
	v_fma_f32 v48, -v41, v49, v43
	v_fmac_f32_e32 v49, v48, v46
	v_fma_f32 v23, -v23, v52, v25
	v_fma_f32 v25, -v41, v49, v43
	v_div_fmas_f32 v25, v25, v46, v49
	s_mov_b64 vcc, s[0:1]
	v_div_fmas_f32 v23, v23, v27, v52
	v_div_fixup_f32 v46, v23, v45, v38
	v_div_scale_f32 v23, vcc, v39, v45, v39
	v_div_fixup_f32 v41, v25, v45, v40
	v_mul_f32_e32 v25, v23, v47
	v_fma_f32 v27, -v35, v25, v23
	v_fmac_f32_e32 v25, v27, v47
	v_fma_f32 v23, -v35, v25, v23
	v_div_fmas_f32 v23, v23, v47, v25
	v_div_fixup_f32 v47, v23, v45, v39
	v_pk_mul_f32 v[48:49], v[46:47], v[46:47]
	v_add_f32_e32 v35, v48, v49
	v_fmac_f32_e32 v35, v41, v41
	s_waitcnt vmcnt(0)
	v_fma_f32 v21, -v21, v35, v44
	v_mul_f32_e32 v43, 0x3ecccccc, v21
	v_mul_f32_e32 v23, 0x3fb33333, v43
	v_div_scale_f32 v25, s[0:1], v45, v45, v23
	v_rcp_f32_e32 v27, v25
	v_mul_f32_e32 v48, 0.5, v37
	v_pk_add_f32 v[52:53], v[12:13], v[44:45] neg_lo:[0,1] neg_hi:[0,1]
	v_fmac_f32_e32 v44, 0x3ecccccc, v21
	v_fma_f32 v37, -v25, v27, 1.0
	v_fmac_f32_e32 v27, v37, v27
	v_div_scale_f32 v37, vcc, v23, v45, v23
	v_mul_f32_e32 v49, v37, v27
	v_fma_f32 v54, -v25, v49, v37
	v_fmac_f32_e32 v49, v54, v27
	v_fma_f32 v25, -v25, v49, v37
	v_div_fmas_f32 v25, v25, v27, v49
	v_div_fixup_f32 v23, v25, v45, v23
	v_mul_f32_e32 v25, 0x4f800000, v23
	v_cmp_gt_f32_e32 vcc, s28, v23
	v_cndmask_b32_e32 v37, v23, v25, vcc
	v_sqrt_f32_e32 v45, v37
	v_mul_f32_e32 v21, 0x4f800000, v35
	v_fma_f32 v55, v39, v47, v43
	v_mul_f32_e32 v56, v46, v44
	v_add_u32_e32 v49, -1, v45
	v_fma_f32 v54, -v49, v45, v37
	v_cmp_ge_f32_e64 s[0:1], 0, v54
	v_add_u32_e32 v54, 1, v45
	v_cndmask_b32_e64 v49, v45, v49, s[0:1]
	v_fma_f32 v45, -v54, v45, v37
	v_cmp_lt_f32_e64 s[0:1], 0, v45
	v_cndmask_b32_e64 v45, v49, v54, s[0:1]
	v_mul_f32_e32 v49, 0x37800000, v45
	v_cndmask_b32_e32 v45, v45, v49, vcc
	v_cmp_class_f32_e32 vcc, v37, v31
	v_cndmask_b32_e32 v37, v45, v37, vcc
	v_cmp_gt_f32_e32 vcc, s28, v35
	v_cndmask_b32_e32 v21, v35, v21, vcc
	v_sqrt_f32_e32 v35, v21
	v_fma_f32 v45, v38, v46, v43
	v_fmac_f32_e32 v43, v40, v41
	v_mul_f32_e32 v58, v47, v44
	v_mul_f32_e32 v44, v41, v44
	v_add_u32_e32 v41, -1, v35
	v_fma_f32 v49, -v41, v35, v21
	v_cmp_ge_f32_e64 s[0:1], 0, v49
	v_add_u32_e32 v49, 1, v35
	v_cndmask_b32_e64 v41, v35, v41, s[0:1]
	v_fma_f32 v35, -v49, v35, v21
	v_cmp_lt_f32_e64 s[0:1], 0, v35
	v_cndmask_b32_e64 v35, v41, v49, s[0:1]
	v_mul_f32_e32 v41, 0x37800000, v35
	v_cndmask_b32_e32 v35, v35, v41, vcc
	v_cmp_class_f32_e32 vcc, v21, v31
	v_cndmask_b32_e32 v21, v35, v21, vcc
	v_add_f32_e32 v21, v50, v21
	v_add_f32_e32 v21, v51, v21
	;; [unrolled: 1-line block ×3, first 2 shown]
	v_sub_f32_e32 v57, v10, v40
	v_mul_f32_e32 v54, v39, v46
	v_mul_f32_e32 v60, v15, v21
	v_mov_b32_e32 v27, v6
	v_pk_add_f32 v[62:63], v[6:7], v[38:39] neg_lo:[0,1] neg_hi:[0,1]
	v_fmac_f32_e32 v11, v57, v60
	v_pk_add_f32 v[54:55], v[18:19], v[54:55]
	v_mov_b32_e32 v57, v38
	v_mov_b32_e32 v25, v7
	v_pk_fma_f32 v[32:33], v[62:63], v[60:61], v[32:33] op_sel_hi:[1,0,1]
	v_add_f32_e32 v62, v20, v45
	v_mov_b32_e32 v63, v54
	v_pk_fma_f32 v[46:47], v[46:47], v[40:41], v[16:17] op_sel_hi:[1,0,1]
	v_pk_fma_f32 v[28:29], v[52:53], v[60:61], v[28:29] op_sel_hi:[1,0,1]
	v_pk_add_f32 v[52:53], v[26:27], v[56:57]
	v_mov_b32_e32 v59, v39
	v_mov_b32_e32 v23, v10
	v_pk_fma_f32 v[32:33], v[42:43], v[62:63], v[32:33] op_sel_hi:[0,1,1]
	v_fmac_f32_e32 v11, v42, v46
	v_pk_fma_f32 v[28:29], v[42:43], v[52:53], v[28:29] op_sel_hi:[0,1,1]
	v_pk_add_f32 v[38:39], v[24:25], v[58:59]
	v_mov_b32_e32 v45, v40
	v_pk_fma_f32 v[32:33], v[36:37], v[54:55], v[32:33] op_sel_hi:[0,1,1]
	v_fmac_f32_e32 v11, v36, v47
	v_pk_fma_f32 v[28:29], v[36:37], v[38:39], v[28:29] op_sel_hi:[0,1,1]
	v_pk_add_f32 v[36:37], v[22:23], v[44:45]
	v_add_f32_e32 v15, v14, v43
	v_pk_fma_f32 v[28:29], v[48:49], v[36:37], v[28:29] op_sel_hi:[0,1,1]
	v_pk_fma_f32 v[32:33], v[48:49], v[46:47], v[32:33] op_sel_hi:[0,1,1]
	v_fmac_f32_e32 v11, v48, v15
.LBB3_31:
	s_or_b64 exec, exec, s[2:3]
	v_mov_b32_e32 v15, s9
	s_waitcnt vmcnt(1)
	v_add_co_u32_e32 v36, vcc, s8, v4
	s_waitcnt vmcnt(0)
	v_addc_co_u32_e32 v37, vcc, v15, v5, vcc
	v_add_u32_e32 v34, s30, v34
	v_mov_b32_e32 v15, s11
	v_add_co_u32_e32 v40, vcc, s10, v4
	v_ashrrev_i32_e32 v35, 31, v34
	global_load_dword v38, v[36:37], off
	v_addc_co_u32_e32 v41, vcc, v15, v5, vcc
	v_lshlrev_b64 v[36:37], 2, v[34:35]
	v_add_u32_e32 v34, s25, v34
	v_add_co_u32_e32 v42, vcc, s10, v36
	v_ashrrev_i32_e32 v35, 31, v34
	v_addc_co_u32_e32 v43, vcc, v15, v37, vcc
	v_lshlrev_b64 v[34:35], 2, v[34:35]
	v_add_co_u32_e32 v44, vcc, s10, v34
	v_addc_co_u32_e32 v45, vcc, v15, v35, vcc
	global_load_dword v36, v[40:41], off
	global_load_dword v34, v[42:43], off
	;; [unrolled: 1-line block ×3, first 2 shown]
	s_waitcnt vmcnt(3)
	v_cmp_gt_i32_e32 vcc, 0, v38
	s_and_saveexec_b64 s[0:1], vcc
	s_xor_b64 s[0:1], exec, s[0:1]
	s_cbranch_execz .LBB3_39
; %bb.32:
	v_cmp_lt_i32_e32 vcc, -2, v38
	s_and_saveexec_b64 s[2:3], vcc
	s_xor_b64 s[2:3], exec, s[2:3]
	s_cbranch_execz .LBB3_34
; %bb.33:
	s_waitcnt vmcnt(1)
	v_mov_b32_e32 v37, v34
	v_pk_fma_f32 v[32:33], v[30:31], v[36:37], v[32:33] op_sel_hi:[0,1,1]
	s_waitcnt vmcnt(0)
	v_fmac_f32_e32 v11, v30, v35
                                        ; implicit-def: $vgpr6
                                        ; implicit-def: $vgpr10
                                        ; implicit-def: $vgpr20
                                        ; implicit-def: $vgpr18
                                        ; implicit-def: $vgpr16_vgpr17
                                        ; implicit-def: $vgpr14
                                        ; implicit-def: $vgpr26
                                        ; implicit-def: $vgpr24
                                        ; implicit-def: $vgpr22
                                        ; implicit-def: $vgpr38
                                        ; implicit-def: $vgpr36
                                        ; implicit-def: $vgpr34
.LBB3_34:
	s_andn2_saveexec_b64 s[2:3], s[2:3]
	s_cbranch_execz .LBB3_38
; %bb.35:
	v_cmp_eq_u32_e32 vcc, -2, v38
	s_and_saveexec_b64 s[4:5], vcc
	s_cbranch_execz .LBB3_37
; %bb.36:
	s_load_dwordx2 s[8:9], s[14:15], 0x4
	s_load_dword s11, s[14:15], 0xc
	s_load_dwordx2 s[28:29], s[18:19], 0x0
	s_load_dword s10, s[18:19], 0x8
	s_load_dwordx2 s[30:31], s[20:21], 0x0
	s_waitcnt lgkmcnt(0)
	s_load_dwordx2 s[34:35], s[26:27], 0x0
	s_load_dword s36, s[20:21], 0x8
	s_load_dwordx2 s[38:39], s[22:23], 0x0
	s_load_dword s37, s[22:23], 0x8
	s_load_dword s41, s[26:27], 0x8
	v_mov_b32_e32 v27, v6
	s_mov_b32 s14, s28
	s_mov_b32 s15, s8
	s_waitcnt vmcnt(2)
	v_mul_f32_e32 v12, 0.5, v36
	s_waitcnt lgkmcnt(0)
	v_add_f32_e32 v13, s34, v16
	v_pk_add_f32 v[26:27], v[26:27], s[14:15]
	v_mov_b32_e32 v25, v7
	s_mov_b32 s8, s29
	s_waitcnt vmcnt(0)
	v_pk_mul_f32 v[30:31], v[34:35], 0.5 op_sel_hi:[1,0]
	v_pk_fma_f32 v[26:27], v[12:13], v[26:27], v[28:29] op_sel_hi:[0,1,1]
	v_pk_add_f32 v[6:7], v[24:25], s[8:9]
	v_mov_b32_e32 v23, v10
	v_pk_fma_f32 v[6:7], v[30:31], v[6:7], v[26:27] op_sel_hi:[0,1,1]
	v_pk_add_f32 v[22:23], v[22:23], s[10:11]
	v_mov_b32_e32 v21, v18
	s_mov_b32 s8, s30
	s_mov_b32 s9, s38
	v_pk_fma_f32 v[28:29], v[30:31], v[22:23], v[6:7] op_sel:[1,0,0]
	v_pk_add_f32 v[6:7], v[20:21], s[8:9]
	s_mov_b32 s38, s31
	v_fmac_f32_e32 v11, v12, v13
	v_pk_fma_f32 v[6:7], v[12:13], v[6:7], v[32:33] op_sel_hi:[0,1,1]
	v_pk_add_f32 v[12:13], v[18:19], s[38:39]
	v_pk_fma_f32 v[6:7], v[30:31], v[12:13], v[6:7] op_sel_hi:[0,1,1]
	v_pk_add_f32 v[12:13], v[16:17], s[36:37]
	s_mov_b32 s40, s35
	v_pk_fma_f32 v[32:33], v[30:31], v[12:13], v[6:7] op_sel:[1,0,0]
	v_mov_b32_e32 v6, v17
	v_mov_b32_e32 v7, v14
	v_pk_add_f32 v[6:7], v[6:7], s[40:41]
	v_pk_mul_f32 v[6:7], v[30:31], v[6:7]
	v_add_f32_e32 v6, v11, v6
	v_add_f32_e32 v11, v6, v7
.LBB3_37:
	s_or_b64 exec, exec, s[4:5]
.LBB3_38:
	s_or_b64 exec, exec, s[2:3]
                                        ; implicit-def: $vgpr13
                                        ; implicit-def: $vgpr6
                                        ; implicit-def: $vgpr10
                                        ; implicit-def: $vgpr50
                                        ; implicit-def: $vgpr51
                                        ; implicit-def: $vgpr20
                                        ; implicit-def: $vgpr18
                                        ; implicit-def: $vgpr16_vgpr17
                                        ; implicit-def: $vgpr14
                                        ; implicit-def: $vgpr26
                                        ; implicit-def: $vgpr24
                                        ; implicit-def: $vgpr22
                                        ; implicit-def: $vgpr38
                                        ; implicit-def: $vgpr36
                                        ; implicit-def: $vgpr34
.LBB3_39:
	s_andn2_saveexec_b64 s[2:3], s[0:1]
	s_cbranch_execz .LBB3_41
; %bb.40:
	v_mov_b32_e32 v39, 0
	v_lshlrev_b64 v[30:31], 2, v[38:39]
	v_mov_b32_e32 v15, s13
	v_add_co_u32_e32 v42, vcc, s12, v30
	v_add_u32_e32 v30, s24, v38
	v_addc_co_u32_e32 v43, vcc, v15, v31, vcc
	v_ashrrev_i32_e32 v31, 31, v30
	v_lshlrev_b64 v[38:39], 2, v[30:31]
	v_add_u32_e32 v40, s24, v30
	v_add_co_u32_e32 v38, vcc, s12, v38
	v_ashrrev_i32_e32 v41, 31, v40
	v_addc_co_u32_e32 v39, vcc, v15, v39, vcc
	v_lshlrev_b64 v[30:31], 2, v[40:41]
	v_add_co_u32_e32 v44, vcc, s12, v30
	v_addc_co_u32_e32 v45, vcc, v15, v31, vcc
	global_load_dword v41, v[42:43], off
	global_load_dword v30, v[38:39], off
	global_load_dword v31, v[44:45], off
	v_add_u32_e32 v42, s24, v40
	v_ashrrev_i32_e32 v43, 31, v42
	v_lshlrev_b64 v[38:39], 2, v[42:43]
	v_add_co_u32_e32 v38, vcc, s12, v38
	v_addc_co_u32_e32 v39, vcc, v15, v39, vcc
	global_load_dword v38, v[38:39], off
	v_add_u32_e32 v42, s24, v42
	v_ashrrev_i32_e32 v43, 31, v42
	v_lshlrev_b64 v[42:43], 2, v[42:43]
	v_add_co_u32_e32 v42, vcc, s12, v42
	v_addc_co_u32_e32 v43, vcc, v15, v43, vcc
	global_load_dword v40, v[42:43], off
	s_waitcnt vmcnt(6)
	v_mul_f32_e32 v15, v34, v34
	v_fmac_f32_e32 v15, v36, v36
	s_mov_b32 s8, 0xf800000
	s_waitcnt vmcnt(5)
	v_fmac_f32_e32 v15, v35, v35
	v_mul_f32_e32 v21, 0x4f800000, v15
	v_cmp_gt_f32_e32 vcc, s8, v15
	v_cndmask_b32_e32 v15, v15, v21, vcc
	v_sqrt_f32_e32 v21, v15
	v_mov_b32_e32 v37, 0x260
	v_mul_f32_e32 v36, 0.5, v36
	v_mul_f32_e32 v34, 0.5, v34
	v_add_u32_e32 v23, -1, v21
	v_add_u32_e32 v25, 1, v21
	v_fma_f32 v27, -v23, v21, v15
	v_fma_f32 v39, -v25, v21, v15
	v_cmp_ge_f32_e64 s[0:1], 0, v27
	v_cndmask_b32_e64 v21, v21, v23, s[0:1]
	v_cmp_lt_f32_e64 s[0:1], 0, v39
	v_cndmask_b32_e64 v21, v21, v25, s[0:1]
	v_mul_f32_e32 v23, 0x37800000, v21
	v_cndmask_b32_e32 v21, v21, v23, vcc
	v_cmp_class_f32_e32 vcc, v15, v37
	v_cndmask_b32_e32 v15, v21, v15, vcc
	v_mul_f32_e32 v15, 0xbe4ccccd, v15
	v_mul_f32_e32 v15, 0.5, v15
	s_waitcnt vmcnt(4)
	v_mul_f32_e32 v21, 0.5, v41
	s_waitcnt vmcnt(3)
	v_div_scale_f32 v23, s[0:1], v41, v41, v30
	v_rcp_f32_e32 v27, v23
	s_waitcnt vmcnt(2)
	v_div_scale_f32 v39, s[4:5], v41, v41, v31
	v_rcp_f32_e32 v44, v39
	v_fma_f32 v46, -v23, v27, 1.0
	v_div_scale_f32 v25, s[0:1], v30, v41, v30
	s_waitcnt vmcnt(1)
	v_div_scale_f32 v42, s[4:5], v41, v41, v38
	v_rcp_f32_e32 v45, v42
	v_fmac_f32_e32 v27, v46, v27
	v_div_scale_f32 v43, vcc, v38, v41, v38
	v_fma_f32 v47, -v42, v45, 1.0
	v_fma_f32 v46, -v39, v44, 1.0
	v_mul_f32_e32 v48, v25, v27
	v_fmac_f32_e32 v45, v47, v45
	v_fmac_f32_e32 v44, v46, v44
	v_fma_f32 v46, -v23, v48, v25
	v_mul_f32_e32 v47, v43, v45
	v_fmac_f32_e32 v48, v46, v27
	v_fma_f32 v46, -v42, v47, v43
	v_fmac_f32_e32 v47, v46, v45
	v_fma_f32 v23, -v23, v48, v25
	v_fma_f32 v25, -v42, v47, v43
	v_div_fmas_f32 v25, v25, v45, v47
	s_mov_b64 vcc, s[0:1]
	v_div_fmas_f32 v23, v23, v27, v48
	v_div_fixup_f32 v42, v23, v41, v30
	v_div_scale_f32 v23, vcc, v31, v41, v31
	v_div_fixup_f32 v53, v25, v41, v38
	v_mul_f32_e32 v25, v23, v44
	v_fma_f32 v27, -v39, v25, v23
	v_fmac_f32_e32 v25, v27, v44
	v_fma_f32 v23, -v39, v25, v23
	v_div_fmas_f32 v23, v23, v44, v25
	v_div_fixup_f32 v43, v23, v41, v31
	v_pk_mul_f32 v[44:45], v[42:43], v[42:43]
	v_add_f32_e32 v39, v44, v45
	v_fmac_f32_e32 v39, v53, v53
	s_waitcnt vmcnt(0)
	v_fma_f32 v21, -v21, v39, v40
	v_mul_f32_e32 v45, 0x3ecccccc, v21
	v_mul_f32_e32 v23, 0x3fb33333, v45
	v_div_scale_f32 v25, s[0:1], v41, v41, v23
	v_rcp_f32_e32 v27, v25
	v_mul_f32_e32 v44, 0.5, v35
	v_pk_add_f32 v[12:13], v[12:13], v[40:41] neg_lo:[0,1] neg_hi:[0,1]
	v_sub_f32_e32 v49, v10, v38
	v_fma_f32 v35, -v25, v27, 1.0
	v_fmac_f32_e32 v27, v35, v27
	v_div_scale_f32 v35, vcc, v23, v41, v23
	v_mul_f32_e32 v46, v35, v27
	v_fma_f32 v47, -v25, v46, v35
	v_fmac_f32_e32 v46, v47, v27
	v_fma_f32 v25, -v25, v46, v35
	v_div_fmas_f32 v25, v25, v27, v46
	v_div_fixup_f32 v23, v25, v41, v23
	v_mul_f32_e32 v25, 0x4f800000, v23
	v_cmp_gt_f32_e32 vcc, s8, v23
	v_cndmask_b32_e32 v35, v23, v25, vcc
	v_sqrt_f32_e32 v41, v35
	v_mov_b32_e32 v23, v10
	v_fmac_f32_e32 v40, 0x3ecccccc, v21
	v_mul_f32_e32 v21, 0x4f800000, v39
	v_add_u32_e32 v10, -1, v41
	v_fma_f32 v46, -v10, v41, v35
	v_cmp_ge_f32_e64 s[0:1], 0, v46
	v_add_u32_e32 v46, 1, v41
	v_cndmask_b32_e64 v10, v41, v10, s[0:1]
	v_fma_f32 v41, -v46, v41, v35
	v_cmp_lt_f32_e64 s[0:1], 0, v41
	v_cndmask_b32_e64 v10, v10, v46, s[0:1]
	v_mul_f32_e32 v41, 0x37800000, v10
	v_cndmask_b32_e32 v10, v10, v41, vcc
	v_cmp_class_f32_e32 vcc, v35, v37
	v_cndmask_b32_e32 v10, v10, v35, vcc
	v_cmp_gt_f32_e32 vcc, s8, v39
	v_cndmask_b32_e32 v21, v39, v21, vcc
	v_sqrt_f32_e32 v39, v21
	v_fma_f32 v35, v30, v42, v45
	v_fma_f32 v47, v31, v43, v45
	v_fmac_f32_e32 v45, v38, v53
	v_add_u32_e32 v41, -1, v39
	v_mul_f32_e32 v48, v42, v40
	v_mul_f32_e32 v52, v43, v40
	;; [unrolled: 1-line block ×3, first 2 shown]
	v_fma_f32 v53, -v41, v39, v21
	v_cmp_ge_f32_e64 s[0:1], 0, v53
	v_add_u32_e32 v53, 1, v39
	v_cndmask_b32_e64 v41, v39, v41, s[0:1]
	v_fma_f32 v39, -v53, v39, v21
	v_cmp_lt_f32_e64 s[0:1], 0, v39
	v_cndmask_b32_e64 v39, v41, v53, s[0:1]
	v_mul_f32_e32 v41, 0x37800000, v39
	v_cndmask_b32_e32 v39, v39, v41, vcc
	v_cmp_class_f32_e32 vcc, v21, v37
	v_cndmask_b32_e32 v21, v39, v21, vcc
	v_add_f32_e32 v21, v50, v21
	v_add_f32_e32 v21, v51, v21
	;; [unrolled: 1-line block ×3, first 2 shown]
	v_mov_b32_e32 v27, v6
	v_mov_b32_e32 v25, v7
	v_mul_f32_e32 v46, v31, v42
	v_mul_f32_e32 v10, v15, v10
	v_pk_add_f32 v[6:7], v[6:7], v[30:31] neg_lo:[0,1] neg_hi:[0,1]
	v_pk_fma_f32 v[6:7], v[6:7], v[10:11], v[32:33] op_sel_hi:[1,0,1]
	v_fmac_f32_e32 v11, v49, v10
	v_pk_add_f32 v[18:19], v[18:19], v[46:47]
	v_pk_fma_f32 v[16:17], v[42:43], v[38:39], v[16:17] op_sel_hi:[1,0,1]
	v_add_f32_e32 v20, v20, v35
	v_mov_b32_e32 v21, v18
	v_fmac_f32_e32 v11, v36, v16
	v_pk_fma_f32 v[6:7], v[36:37], v[20:21], v[6:7] op_sel_hi:[0,1,1]
	v_fmac_f32_e32 v11, v34, v17
	v_mov_b32_e32 v49, v30
	v_pk_fma_f32 v[6:7], v[34:35], v[18:19], v[6:7] op_sel_hi:[0,1,1]
	v_pk_fma_f32 v[12:13], v[12:13], v[10:11], v[28:29] op_sel_hi:[1,0,1]
	v_pk_add_f32 v[18:19], v[26:27], v[48:49]
	v_mov_b32_e32 v53, v31
	v_pk_fma_f32 v[12:13], v[36:37], v[18:19], v[12:13] op_sel_hi:[0,1,1]
	v_pk_add_f32 v[18:19], v[24:25], v[52:53]
	v_mov_b32_e32 v41, v38
	v_pk_fma_f32 v[12:13], v[34:35], v[18:19], v[12:13] op_sel_hi:[0,1,1]
	v_pk_add_f32 v[18:19], v[22:23], v[40:41]
	v_pk_fma_f32 v[32:33], v[44:45], v[16:17], v[6:7] op_sel_hi:[0,1,1]
	v_add_f32_e32 v6, v14, v45
	v_pk_fma_f32 v[28:29], v[44:45], v[18:19], v[12:13] op_sel_hi:[0,1,1]
	v_fmac_f32_e32 v11, v44, v6
.LBB3_41:
	s_or_b64 exec, exec, s[2:3]
	v_mov_b32_e32 v6, s17
	v_add_co_u32_e32 v0, vcc, s16, v0
	v_addc_co_u32_e32 v1, vcc, v6, v1, vcc
	global_store_dword v[0:1], v29, off
	v_mov_b32_e32 v6, s7
	v_add_co_u32_e32 v0, vcc, s6, v0
	v_addc_co_u32_e32 v1, vcc, v1, v6, vcc
	global_store_dword v[0:1], v32, off
	;; [unrolled: 4-line block ×5, first 2 shown]
.LBB3_42:
	s_endpgm
	.section	.rodata,"a",@progbits
	.p2align	6, 0x0
	.amdhsa_kernel _Z12compute_fluxiPiPfS0_S0_S0_P6Float3S2_S2_S2_
		.amdhsa_group_segment_fixed_size 0
		.amdhsa_private_segment_fixed_size 0
		.amdhsa_kernarg_size 336
		.amdhsa_user_sgpr_count 6
		.amdhsa_user_sgpr_private_segment_buffer 1
		.amdhsa_user_sgpr_dispatch_ptr 0
		.amdhsa_user_sgpr_queue_ptr 0
		.amdhsa_user_sgpr_kernarg_segment_ptr 1
		.amdhsa_user_sgpr_dispatch_id 0
		.amdhsa_user_sgpr_flat_scratch_init 0
		.amdhsa_user_sgpr_kernarg_preload_length 0
		.amdhsa_user_sgpr_kernarg_preload_offset 0
		.amdhsa_user_sgpr_private_segment_size 0
		.amdhsa_uses_dynamic_stack 0
		.amdhsa_system_sgpr_private_segment_wavefront_offset 0
		.amdhsa_system_sgpr_workgroup_id_x 1
		.amdhsa_system_sgpr_workgroup_id_y 0
		.amdhsa_system_sgpr_workgroup_id_z 0
		.amdhsa_system_sgpr_workgroup_info 0
		.amdhsa_system_vgpr_workitem_id 0
		.amdhsa_next_free_vgpr 64
		.amdhsa_next_free_sgpr 48
		.amdhsa_accum_offset 64
		.amdhsa_reserve_vcc 1
		.amdhsa_reserve_flat_scratch 0
		.amdhsa_float_round_mode_32 0
		.amdhsa_float_round_mode_16_64 0
		.amdhsa_float_denorm_mode_32 3
		.amdhsa_float_denorm_mode_16_64 3
		.amdhsa_dx10_clamp 1
		.amdhsa_ieee_mode 1
		.amdhsa_fp16_overflow 0
		.amdhsa_tg_split 0
		.amdhsa_exception_fp_ieee_invalid_op 0
		.amdhsa_exception_fp_denorm_src 0
		.amdhsa_exception_fp_ieee_div_zero 0
		.amdhsa_exception_fp_ieee_overflow 0
		.amdhsa_exception_fp_ieee_underflow 0
		.amdhsa_exception_fp_ieee_inexact 0
		.amdhsa_exception_int_div_zero 0
	.end_amdhsa_kernel
	.text
.Lfunc_end3:
	.size	_Z12compute_fluxiPiPfS0_S0_S0_P6Float3S2_S2_S2_, .Lfunc_end3-_Z12compute_fluxiPiPfS0_S0_S0_P6Float3S2_S2_S2_
                                        ; -- End function
	.section	.AMDGPU.csdata,"",@progbits
; Kernel info:
; codeLenInByte = 7588
; NumSgprs: 52
; NumVgprs: 64
; NumAgprs: 0
; TotalNumVgprs: 64
; ScratchSize: 0
; MemoryBound: 0
; FloatMode: 240
; IeeeMode: 1
; LDSByteSize: 0 bytes/workgroup (compile time only)
; SGPRBlocks: 6
; VGPRBlocks: 7
; NumSGPRsForWavesPerEU: 52
; NumVGPRsForWavesPerEU: 64
; AccumOffset: 64
; Occupancy: 8
; WaveLimiterHint : 1
; COMPUTE_PGM_RSRC2:SCRATCH_EN: 0
; COMPUTE_PGM_RSRC2:USER_SGPR: 6
; COMPUTE_PGM_RSRC2:TRAP_HANDLER: 0
; COMPUTE_PGM_RSRC2:TGID_X_EN: 1
; COMPUTE_PGM_RSRC2:TGID_Y_EN: 0
; COMPUTE_PGM_RSRC2:TGID_Z_EN: 0
; COMPUTE_PGM_RSRC2:TIDIG_COMP_CNT: 0
; COMPUTE_PGM_RSRC3_GFX90A:ACCUM_OFFSET: 15
; COMPUTE_PGM_RSRC3_GFX90A:TG_SPLIT: 0
	.text
	.protected	_Z9time_stepiiPKfPfS0_S0_ ; -- Begin function _Z9time_stepiiPKfPfS0_S0_
	.globl	_Z9time_stepiiPKfPfS0_S0_
	.p2align	8
	.type	_Z9time_stepiiPKfPfS0_S0_,@function
_Z9time_stepiiPKfPfS0_S0_:              ; @_Z9time_stepiiPKfPfS0_S0_
; %bb.0:
	s_load_dword s0, s[4:5], 0x34
	s_load_dwordx2 s[8:9], s[4:5], 0x0
	s_waitcnt lgkmcnt(0)
	s_and_b32 s0, s0, 0xffff
	s_mul_i32 s6, s6, s0
	v_add_u32_e32 v0, s6, v0
	v_cmp_gt_i32_e32 vcc, s9, v0
	s_and_saveexec_b64 s[0:1], vcc
	s_cbranch_execz .LBB4_2
; %bb.1:
	s_load_dwordx8 s[0:7], s[4:5], 0x8
	v_ashrrev_i32_e32 v1, 31, v0
	v_lshlrev_b64 v[2:3], 2, v[0:1]
	s_waitcnt lgkmcnt(0)
	v_mov_b32_e32 v1, s5
	v_add_co_u32_e32 v4, vcc, s4, v2
	v_addc_co_u32_e32 v5, vcc, v1, v3, vcc
	global_load_dword v1, v[4:5], off
	v_mov_b32_e32 v5, s1
	v_add_co_u32_e32 v4, vcc, s0, v2
	v_addc_co_u32_e32 v5, vcc, v5, v3, vcc
	v_mov_b32_e32 v7, s7
	v_add_co_u32_e32 v6, vcc, s6, v2
	v_addc_co_u32_e32 v7, vcc, v7, v3, vcc
	global_load_dword v12, v[4:5], off
	global_load_dword v13, v[6:7], off
	s_sub_i32 s5, 4, s8
	v_cvt_f32_i32_e32 v14, s5
	s_lshl_b32 s4, s9, 2
	s_ashr_i32 s5, s4, 31
	v_mov_b32_e32 v8, s3
	v_add_co_u32_e32 v2, vcc, s2, v2
	s_lshl_b64 s[4:5], s[4:5], 2
	v_addc_co_u32_e32 v3, vcc, v8, v3, vcc
	v_mov_b32_e32 v15, s5
	v_add_co_u32_e32 v8, vcc, s4, v4
	v_addc_co_u32_e32 v9, vcc, v5, v15, vcc
	v_add_co_u32_e32 v10, vcc, s4, v6
	v_addc_co_u32_e32 v11, vcc, v7, v15, vcc
	s_waitcnt vmcnt(2)
	v_div_scale_f32 v16, s[10:11], v14, v14, v1
	v_rcp_f32_e32 v17, v16
	v_div_scale_f32 v18, vcc, v1, v14, v1
	s_ashr_i32 s11, s9, 31
	v_fma_f32 v19, -v16, v17, 1.0
	v_fmac_f32_e32 v17, v19, v17
	v_mul_f32_e32 v19, v18, v17
	v_fma_f32 v20, -v16, v19, v18
	v_fmac_f32_e32 v19, v20, v17
	v_fma_f32 v16, -v16, v19, v18
	v_div_fmas_f32 v16, v16, v17, v19
	v_div_fixup_f32 v14, v16, v14, v1
	s_waitcnt vmcnt(0)
	v_fmac_f32_e32 v12, v14, v13
	global_store_dword v[2:3], v12, off
	global_load_dword v1, v[8:9], off
	s_nop 0
	global_load_dword v12, v[10:11], off
	s_mov_b32 s10, s9
	v_add_co_u32_e32 v8, vcc, s4, v2
	s_lshl_b64 s[10:11], s[10:11], 2
	v_addc_co_u32_e32 v9, vcc, v3, v15, vcc
	v_mov_b32_e32 v10, s11
	v_add_co_u32_e32 v4, vcc, s10, v4
	v_addc_co_u32_e32 v5, vcc, v5, v10, vcc
	v_add_co_u32_e32 v6, vcc, s10, v6
	v_addc_co_u32_e32 v7, vcc, v7, v10, vcc
	s_add_i32 s4, s9, s9
	v_add_u32_e32 v0, s4, v0
	s_waitcnt vmcnt(0)
	v_fmac_f32_e32 v1, v14, v12
	global_store_dword v[8:9], v1, off
	global_load_dword v11, v[4:5], off
	global_load_dword v12, v[6:7], off
	v_ashrrev_i32_e32 v1, 31, v0
	v_lshlrev_b64 v[4:5], 2, v[0:1]
	v_mov_b32_e32 v1, s1
	v_add_co_u32_e32 v6, vcc, s0, v4
	v_addc_co_u32_e32 v7, vcc, v1, v5, vcc
	v_mov_b32_e32 v9, s7
	v_add_co_u32_e32 v8, vcc, s6, v4
	v_addc_co_u32_e32 v9, vcc, v9, v5, vcc
	v_add_co_u32_e32 v2, vcc, s10, v2
	v_addc_co_u32_e32 v3, vcc, v3, v10, vcc
	v_add_u32_e32 v0, s9, v0
	v_ashrrev_i32_e32 v1, 31, v0
	v_lshlrev_b64 v[0:1], 2, v[0:1]
	s_waitcnt vmcnt(0)
	v_fmac_f32_e32 v11, v14, v12
	global_store_dword v[2:3], v11, off
	global_load_dword v10, v[6:7], off
	s_nop 0
	global_load_dword v11, v[8:9], off
	v_mov_b32_e32 v3, s3
	v_add_co_u32_e32 v2, vcc, s2, v4
	v_addc_co_u32_e32 v3, vcc, v3, v5, vcc
	v_mov_b32_e32 v6, s1
	v_add_co_u32_e32 v4, vcc, s0, v0
	v_addc_co_u32_e32 v5, vcc, v6, v1, vcc
	;; [unrolled: 3-line block ×3, first 2 shown]
	v_add_co_u32_e32 v0, vcc, s2, v0
	s_waitcnt vmcnt(0)
	v_fmac_f32_e32 v10, v14, v11
	global_store_dword v[2:3], v10, off
	global_load_dword v2, v[4:5], off
	s_nop 0
	global_load_dword v3, v[6:7], off
	v_mov_b32_e32 v4, s3
	v_addc_co_u32_e32 v1, vcc, v4, v1, vcc
	s_waitcnt vmcnt(0)
	v_fmac_f32_e32 v2, v14, v3
	global_store_dword v[0:1], v2, off
.LBB4_2:
	s_endpgm
	.section	.rodata,"a",@progbits
	.p2align	6, 0x0
	.amdhsa_kernel _Z9time_stepiiPKfPfS0_S0_
		.amdhsa_group_segment_fixed_size 0
		.amdhsa_private_segment_fixed_size 0
		.amdhsa_kernarg_size 296
		.amdhsa_user_sgpr_count 6
		.amdhsa_user_sgpr_private_segment_buffer 1
		.amdhsa_user_sgpr_dispatch_ptr 0
		.amdhsa_user_sgpr_queue_ptr 0
		.amdhsa_user_sgpr_kernarg_segment_ptr 1
		.amdhsa_user_sgpr_dispatch_id 0
		.amdhsa_user_sgpr_flat_scratch_init 0
		.amdhsa_user_sgpr_kernarg_preload_length 0
		.amdhsa_user_sgpr_kernarg_preload_offset 0
		.amdhsa_user_sgpr_private_segment_size 0
		.amdhsa_uses_dynamic_stack 0
		.amdhsa_system_sgpr_private_segment_wavefront_offset 0
		.amdhsa_system_sgpr_workgroup_id_x 1
		.amdhsa_system_sgpr_workgroup_id_y 0
		.amdhsa_system_sgpr_workgroup_id_z 0
		.amdhsa_system_sgpr_workgroup_info 0
		.amdhsa_system_vgpr_workitem_id 0
		.amdhsa_next_free_vgpr 21
		.amdhsa_next_free_sgpr 12
		.amdhsa_accum_offset 24
		.amdhsa_reserve_vcc 1
		.amdhsa_reserve_flat_scratch 0
		.amdhsa_float_round_mode_32 0
		.amdhsa_float_round_mode_16_64 0
		.amdhsa_float_denorm_mode_32 3
		.amdhsa_float_denorm_mode_16_64 3
		.amdhsa_dx10_clamp 1
		.amdhsa_ieee_mode 1
		.amdhsa_fp16_overflow 0
		.amdhsa_tg_split 0
		.amdhsa_exception_fp_ieee_invalid_op 0
		.amdhsa_exception_fp_denorm_src 0
		.amdhsa_exception_fp_ieee_div_zero 0
		.amdhsa_exception_fp_ieee_overflow 0
		.amdhsa_exception_fp_ieee_underflow 0
		.amdhsa_exception_fp_ieee_inexact 0
		.amdhsa_exception_int_div_zero 0
	.end_amdhsa_kernel
	.text
.Lfunc_end4:
	.size	_Z9time_stepiiPKfPfS0_S0_, .Lfunc_end4-_Z9time_stepiiPKfPfS0_S0_
                                        ; -- End function
	.section	.AMDGPU.csdata,"",@progbits
; Kernel info:
; codeLenInByte = 576
; NumSgprs: 16
; NumVgprs: 21
; NumAgprs: 0
; TotalNumVgprs: 21
; ScratchSize: 0
; MemoryBound: 0
; FloatMode: 240
; IeeeMode: 1
; LDSByteSize: 0 bytes/workgroup (compile time only)
; SGPRBlocks: 1
; VGPRBlocks: 2
; NumSGPRsForWavesPerEU: 16
; NumVGPRsForWavesPerEU: 21
; AccumOffset: 24
; Occupancy: 8
; WaveLimiterHint : 0
; COMPUTE_PGM_RSRC2:SCRATCH_EN: 0
; COMPUTE_PGM_RSRC2:USER_SGPR: 6
; COMPUTE_PGM_RSRC2:TRAP_HANDLER: 0
; COMPUTE_PGM_RSRC2:TGID_X_EN: 1
; COMPUTE_PGM_RSRC2:TGID_Y_EN: 0
; COMPUTE_PGM_RSRC2:TGID_Z_EN: 0
; COMPUTE_PGM_RSRC2:TIDIG_COMP_CNT: 0
; COMPUTE_PGM_RSRC3_GFX90A:ACCUM_OFFSET: 5
; COMPUTE_PGM_RSRC3_GFX90A:TG_SPLIT: 0
	.text
	.p2alignl 6, 3212836864
	.fill 256, 4, 3212836864
	.type	__hip_cuid_f2777156fe2b6cf5,@object ; @__hip_cuid_f2777156fe2b6cf5
	.section	.bss,"aw",@nobits
	.globl	__hip_cuid_f2777156fe2b6cf5
__hip_cuid_f2777156fe2b6cf5:
	.byte	0                               ; 0x0
	.size	__hip_cuid_f2777156fe2b6cf5, 1

	.ident	"AMD clang version 19.0.0git (https://github.com/RadeonOpenCompute/llvm-project roc-6.4.0 25133 c7fe45cf4b819c5991fe208aaa96edf142730f1d)"
	.section	".note.GNU-stack","",@progbits
	.addrsig
	.addrsig_sym __hip_cuid_f2777156fe2b6cf5
	.amdgpu_metadata
---
amdhsa.kernels:
  - .agpr_count:     0
    .args:
      - .address_space:  global
        .offset:         0
        .size:           8
        .value_kind:     global_buffer
      - .offset:         8
        .size:           4
        .value_kind:     by_value
      - .offset:         12
        .size:           4
        .value_kind:     by_value
      - .offset:         16
        .size:           4
        .value_kind:     hidden_block_count_x
      - .offset:         20
        .size:           4
        .value_kind:     hidden_block_count_y
      - .offset:         24
        .size:           4
        .value_kind:     hidden_block_count_z
      - .offset:         28
        .size:           2
        .value_kind:     hidden_group_size_x
      - .offset:         30
        .size:           2
        .value_kind:     hidden_group_size_y
      - .offset:         32
        .size:           2
        .value_kind:     hidden_group_size_z
      - .offset:         34
        .size:           2
        .value_kind:     hidden_remainder_x
      - .offset:         36
        .size:           2
        .value_kind:     hidden_remainder_y
      - .offset:         38
        .size:           2
        .value_kind:     hidden_remainder_z
      - .offset:         56
        .size:           8
        .value_kind:     hidden_global_offset_x
      - .offset:         64
        .size:           8
        .value_kind:     hidden_global_offset_y
      - .offset:         72
        .size:           8
        .value_kind:     hidden_global_offset_z
      - .offset:         80
        .size:           2
        .value_kind:     hidden_grid_dims
    .group_segment_fixed_size: 0
    .kernarg_segment_align: 8
    .kernarg_segment_size: 272
    .language:       OpenCL C
    .language_version:
      - 2
      - 0
    .max_flat_workgroup_size: 1024
    .name:           _Z17initialize_bufferPffi
    .private_segment_fixed_size: 0
    .sgpr_count:     11
    .sgpr_spill_count: 0
    .symbol:         _Z17initialize_bufferPffi.kd
    .uniform_work_group_size: 1
    .uses_dynamic_stack: false
    .vgpr_count:     3
    .vgpr_spill_count: 0
    .wavefront_size: 64
  - .agpr_count:     0
    .args:
      - .offset:         0
        .size:           4
        .value_kind:     by_value
      - .address_space:  global
        .offset:         8
        .size:           8
        .value_kind:     global_buffer
      - .address_space:  global
        .offset:         16
        .size:           8
        .value_kind:     global_buffer
      - .offset:         24
        .size:           4
        .value_kind:     hidden_block_count_x
      - .offset:         28
        .size:           4
        .value_kind:     hidden_block_count_y
      - .offset:         32
        .size:           4
        .value_kind:     hidden_block_count_z
      - .offset:         36
        .size:           2
        .value_kind:     hidden_group_size_x
      - .offset:         38
        .size:           2
        .value_kind:     hidden_group_size_y
      - .offset:         40
        .size:           2
        .value_kind:     hidden_group_size_z
      - .offset:         42
        .size:           2
        .value_kind:     hidden_remainder_x
      - .offset:         44
        .size:           2
        .value_kind:     hidden_remainder_y
      - .offset:         46
        .size:           2
        .value_kind:     hidden_remainder_z
      - .offset:         64
        .size:           8
        .value_kind:     hidden_global_offset_x
      - .offset:         72
        .size:           8
        .value_kind:     hidden_global_offset_y
      - .offset:         80
        .size:           8
        .value_kind:     hidden_global_offset_z
      - .offset:         88
        .size:           2
        .value_kind:     hidden_grid_dims
    .group_segment_fixed_size: 0
    .kernarg_segment_align: 8
    .kernarg_segment_size: 280
    .language:       OpenCL C
    .language_version:
      - 2
      - 0
    .max_flat_workgroup_size: 1024
    .name:           _Z20initialize_variablesiPfPKf
    .private_segment_fixed_size: 0
    .sgpr_count:     12
    .sgpr_spill_count: 0
    .symbol:         _Z20initialize_variablesiPfPKf.kd
    .uniform_work_group_size: 1
    .uses_dynamic_stack: false
    .vgpr_count:     6
    .vgpr_spill_count: 0
    .wavefront_size: 64
  - .agpr_count:     0
    .args:
      - .offset:         0
        .size:           4
        .value_kind:     by_value
      - .address_space:  global
        .offset:         8
        .size:           8
        .value_kind:     global_buffer
      - .address_space:  global
        .offset:         16
        .size:           8
        .value_kind:     global_buffer
      - .address_space:  global
        .offset:         24
        .size:           8
        .value_kind:     global_buffer
      - .offset:         32
        .size:           4
        .value_kind:     hidden_block_count_x
      - .offset:         36
        .size:           4
        .value_kind:     hidden_block_count_y
      - .offset:         40
        .size:           4
        .value_kind:     hidden_block_count_z
      - .offset:         44
        .size:           2
        .value_kind:     hidden_group_size_x
      - .offset:         46
        .size:           2
        .value_kind:     hidden_group_size_y
      - .offset:         48
        .size:           2
        .value_kind:     hidden_group_size_z
      - .offset:         50
        .size:           2
        .value_kind:     hidden_remainder_x
      - .offset:         52
        .size:           2
        .value_kind:     hidden_remainder_y
      - .offset:         54
        .size:           2
        .value_kind:     hidden_remainder_z
      - .offset:         72
        .size:           8
        .value_kind:     hidden_global_offset_x
      - .offset:         80
        .size:           8
        .value_kind:     hidden_global_offset_y
      - .offset:         88
        .size:           8
        .value_kind:     hidden_global_offset_z
      - .offset:         96
        .size:           2
        .value_kind:     hidden_grid_dims
    .group_segment_fixed_size: 0
    .kernarg_segment_align: 8
    .kernarg_segment_size: 288
    .language:       OpenCL C
    .language_version:
      - 2
      - 0
    .max_flat_workgroup_size: 1024
    .name:           _Z19compute_step_factoriPfS_S_
    .private_segment_fixed_size: 0
    .sgpr_count:     14
    .sgpr_spill_count: 0
    .symbol:         _Z19compute_step_factoriPfS_S_.kd
    .uniform_work_group_size: 1
    .uses_dynamic_stack: false
    .vgpr_count:     24
    .vgpr_spill_count: 0
    .wavefront_size: 64
  - .agpr_count:     0
    .args:
      - .offset:         0
        .size:           4
        .value_kind:     by_value
      - .address_space:  global
        .offset:         8
        .size:           8
        .value_kind:     global_buffer
      - .address_space:  global
        .offset:         16
        .size:           8
        .value_kind:     global_buffer
      - .address_space:  global
        .offset:         24
        .size:           8
        .value_kind:     global_buffer
      - .address_space:  global
        .offset:         32
        .size:           8
        .value_kind:     global_buffer
      - .address_space:  global
        .offset:         40
        .size:           8
        .value_kind:     global_buffer
      - .address_space:  global
        .offset:         48
        .size:           8
        .value_kind:     global_buffer
      - .address_space:  global
        .offset:         56
        .size:           8
        .value_kind:     global_buffer
      - .address_space:  global
        .offset:         64
        .size:           8
        .value_kind:     global_buffer
      - .address_space:  global
        .offset:         72
        .size:           8
        .value_kind:     global_buffer
      - .offset:         80
        .size:           4
        .value_kind:     hidden_block_count_x
      - .offset:         84
        .size:           4
        .value_kind:     hidden_block_count_y
      - .offset:         88
        .size:           4
        .value_kind:     hidden_block_count_z
      - .offset:         92
        .size:           2
        .value_kind:     hidden_group_size_x
      - .offset:         94
        .size:           2
        .value_kind:     hidden_group_size_y
      - .offset:         96
        .size:           2
        .value_kind:     hidden_group_size_z
      - .offset:         98
        .size:           2
        .value_kind:     hidden_remainder_x
      - .offset:         100
        .size:           2
        .value_kind:     hidden_remainder_y
      - .offset:         102
        .size:           2
        .value_kind:     hidden_remainder_z
      - .offset:         120
        .size:           8
        .value_kind:     hidden_global_offset_x
      - .offset:         128
        .size:           8
        .value_kind:     hidden_global_offset_y
      - .offset:         136
        .size:           8
        .value_kind:     hidden_global_offset_z
      - .offset:         144
        .size:           2
        .value_kind:     hidden_grid_dims
    .group_segment_fixed_size: 0
    .kernarg_segment_align: 8
    .kernarg_segment_size: 336
    .language:       OpenCL C
    .language_version:
      - 2
      - 0
    .max_flat_workgroup_size: 1024
    .name:           _Z12compute_fluxiPiPfS0_S0_S0_P6Float3S2_S2_S2_
    .private_segment_fixed_size: 0
    .sgpr_count:     52
    .sgpr_spill_count: 0
    .symbol:         _Z12compute_fluxiPiPfS0_S0_S0_P6Float3S2_S2_S2_.kd
    .uniform_work_group_size: 1
    .uses_dynamic_stack: false
    .vgpr_count:     64
    .vgpr_spill_count: 0
    .wavefront_size: 64
  - .agpr_count:     0
    .args:
      - .offset:         0
        .size:           4
        .value_kind:     by_value
      - .offset:         4
        .size:           4
        .value_kind:     by_value
      - .address_space:  global
        .offset:         8
        .size:           8
        .value_kind:     global_buffer
      - .address_space:  global
        .offset:         16
        .size:           8
        .value_kind:     global_buffer
      - .address_space:  global
        .offset:         24
        .size:           8
        .value_kind:     global_buffer
      - .address_space:  global
        .offset:         32
        .size:           8
        .value_kind:     global_buffer
      - .offset:         40
        .size:           4
        .value_kind:     hidden_block_count_x
      - .offset:         44
        .size:           4
        .value_kind:     hidden_block_count_y
      - .offset:         48
        .size:           4
        .value_kind:     hidden_block_count_z
      - .offset:         52
        .size:           2
        .value_kind:     hidden_group_size_x
      - .offset:         54
        .size:           2
        .value_kind:     hidden_group_size_y
      - .offset:         56
        .size:           2
        .value_kind:     hidden_group_size_z
      - .offset:         58
        .size:           2
        .value_kind:     hidden_remainder_x
      - .offset:         60
        .size:           2
        .value_kind:     hidden_remainder_y
      - .offset:         62
        .size:           2
        .value_kind:     hidden_remainder_z
      - .offset:         80
        .size:           8
        .value_kind:     hidden_global_offset_x
      - .offset:         88
        .size:           8
        .value_kind:     hidden_global_offset_y
      - .offset:         96
        .size:           8
        .value_kind:     hidden_global_offset_z
      - .offset:         104
        .size:           2
        .value_kind:     hidden_grid_dims
    .group_segment_fixed_size: 0
    .kernarg_segment_align: 8
    .kernarg_segment_size: 296
    .language:       OpenCL C
    .language_version:
      - 2
      - 0
    .max_flat_workgroup_size: 1024
    .name:           _Z9time_stepiiPKfPfS0_S0_
    .private_segment_fixed_size: 0
    .sgpr_count:     16
    .sgpr_spill_count: 0
    .symbol:         _Z9time_stepiiPKfPfS0_S0_.kd
    .uniform_work_group_size: 1
    .uses_dynamic_stack: false
    .vgpr_count:     21
    .vgpr_spill_count: 0
    .wavefront_size: 64
amdhsa.target:   amdgcn-amd-amdhsa--gfx90a
amdhsa.version:
  - 1
  - 2
...

	.end_amdgpu_metadata
